;; amdgpu-corpus repo=ROCm/rocFFT kind=compiled arch=gfx1201 opt=O3
	.text
	.amdgcn_target "amdgcn-amd-amdhsa--gfx1201"
	.amdhsa_code_object_version 6
	.protected	bluestein_single_back_len748_dim1_sp_op_CI_CI ; -- Begin function bluestein_single_back_len748_dim1_sp_op_CI_CI
	.globl	bluestein_single_back_len748_dim1_sp_op_CI_CI
	.p2align	8
	.type	bluestein_single_back_len748_dim1_sp_op_CI_CI,@function
bluestein_single_back_len748_dim1_sp_op_CI_CI: ; @bluestein_single_back_len748_dim1_sp_op_CI_CI
; %bb.0:
	s_load_b128 s[4:7], s[0:1], 0x28
	v_mul_u32_u24_e32 v1, 0x3c4, v0
	s_mov_b32 s2, exec_lo
	s_delay_alu instid0(VALU_DEP_1) | instskip(NEXT) | instid1(VALU_DEP_1)
	v_lshrrev_b32_e32 v1, 16, v1
	v_mad_co_u64_u32 v[60:61], null, ttmp9, 3, v[1:2]
	v_mov_b32_e32 v61, 0
                                        ; kill: def $vgpr2 killed $sgpr0 killed $exec
	s_wait_kmcnt 0x0
	s_delay_alu instid0(VALU_DEP_1)
	v_cmpx_gt_u64_e64 s[4:5], v[60:61]
	s_cbranch_execz .LBB0_23
; %bb.1:
	v_mul_hi_u32 v2, 0xaaaaaaab, v60
	v_mul_lo_u16 v1, 0x44, v1
	s_clause 0x1
	s_load_b64 s[12:13], s[0:1], 0x0
	s_load_b64 s[14:15], s[0:1], 0x38
	s_delay_alu instid0(VALU_DEP_1) | instskip(NEXT) | instid1(VALU_DEP_3)
	v_sub_nc_u16 v0, v0, v1
	v_lshrrev_b32_e32 v2, 1, v2
	s_delay_alu instid0(VALU_DEP_2) | instskip(SKIP_1) | instid1(VALU_DEP_3)
	v_and_b32_e32 v93, 0xffff, v0
	v_cmp_gt_u16_e32 vcc_lo, 44, v0
	v_lshl_add_u32 v2, v2, 1, v2
	s_delay_alu instid0(VALU_DEP_3) | instskip(SKIP_1) | instid1(VALU_DEP_3)
	v_lshlrev_b32_e32 v92, 3, v93
	v_or_b32_e32 v91, 0x2c0, v93
	v_sub_nc_u32_e32 v1, v60, v2
	s_delay_alu instid0(VALU_DEP_1) | instskip(NEXT) | instid1(VALU_DEP_1)
	v_mul_u32_u24_e32 v46, 0x2ec, v1
	v_lshlrev_b32_e32 v94, 3, v46
	s_and_saveexec_b32 s3, vcc_lo
	s_cbranch_execz .LBB0_3
; %bb.2:
	s_load_b64 s[4:5], s[0:1], 0x18
	s_delay_alu instid0(VALU_DEP_1)
	v_lshl_add_u32 v73, v93, 3, v94
	s_wait_kmcnt 0x0
	s_load_b128 s[8:11], s[4:5], 0x0
	s_clause 0x7
	global_load_b64 v[4:5], v92, s[12:13]
	global_load_b64 v[6:7], v92, s[12:13] offset:352
	global_load_b64 v[8:9], v92, s[12:13] offset:704
	;; [unrolled: 1-line block ×7, first 2 shown]
	v_add_nc_u32_e32 v59, v94, v92
	s_delay_alu instid0(VALU_DEP_1) | instskip(SKIP_4) | instid1(VALU_DEP_1)
	v_add_nc_u32_e32 v74, 0x400, v59
	s_wait_kmcnt 0x0
	v_mad_co_u64_u32 v[0:1], null, s10, v60, 0
	v_mad_co_u64_u32 v[2:3], null, s8, v93, 0
	s_mul_u64 s[4:5], s[8:9], 0x160
	v_mad_co_u64_u32 v[20:21], null, s11, v60, v[1:2]
	v_mad_co_u64_u32 v[21:22], null, s8, v91, 0
	s_delay_alu instid0(VALU_DEP_1) | instskip(NEXT) | instid1(VALU_DEP_1)
	v_dual_mov_b32 v1, v20 :: v_dual_mov_b32 v20, v22
	v_lshlrev_b64_e32 v[0:1], 3, v[0:1]
	s_wait_loadcnt 0x7
	v_mad_co_u64_u32 v[23:24], null, s9, v93, v[3:4]
	s_clause 0x6
	global_load_b64 v[24:25], v92, s[12:13] offset:2816
	global_load_b64 v[26:27], v92, s[12:13] offset:3168
	;; [unrolled: 1-line block ×7, first 2 shown]
	v_mov_b32_e32 v3, v23
	v_mad_co_u64_u32 v[22:23], null, s9, v91, v[20:21]
	v_add_co_u32 v23, s2, s6, v0
	s_delay_alu instid0(VALU_DEP_3) | instskip(SKIP_1) | instid1(VALU_DEP_2)
	v_lshlrev_b64_e32 v[2:3], 3, v[2:3]
	v_add_co_ci_u32_e64 v38, s2, s7, v1, s2
	v_add_co_u32 v0, s2, v23, v2
	s_wait_alu 0xf1ff
	s_delay_alu instid0(VALU_DEP_2)
	v_add_co_ci_u32_e64 v1, s2, v38, v3, s2
	v_lshlrev_b64_e32 v[2:3], 3, v[21:22]
	s_wait_alu 0xfffe
	v_add_co_u32 v20, s2, v0, s4
	s_wait_alu 0xf1ff
	v_add_co_ci_u32_e64 v21, s2, s5, v1, s2
	global_load_b64 v[0:1], v[0:1], off
	v_add_co_u32 v2, s2, v23, v2
	s_wait_alu 0xf1ff
	v_add_co_ci_u32_e64 v3, s2, v38, v3, s2
	v_add_co_u32 v22, s2, v20, s4
	s_wait_alu 0xf1ff
	v_add_co_ci_u32_e64 v23, s2, s5, v21, s2
	global_load_b64 v[2:3], v[2:3], off
	v_add_co_u32 v38, s2, v22, s4
	s_wait_alu 0xf1ff
	v_add_co_ci_u32_e64 v39, s2, s5, v23, s2
	s_delay_alu instid0(VALU_DEP_2) | instskip(SKIP_1) | instid1(VALU_DEP_2)
	v_add_co_u32 v40, s2, v38, s4
	s_wait_alu 0xf1ff
	v_add_co_ci_u32_e64 v41, s2, s5, v39, s2
	s_clause 0x2
	global_load_b64 v[20:21], v[20:21], off
	global_load_b64 v[22:23], v[22:23], off
	global_load_b64 v[38:39], v[38:39], off
	v_add_co_u32 v42, s2, v40, s4
	s_wait_alu 0xf1ff
	v_add_co_ci_u32_e64 v43, s2, s5, v41, s2
	global_load_b64 v[40:41], v[40:41], off
	v_add_co_u32 v44, s2, v42, s4
	s_wait_alu 0xf1ff
	v_add_co_ci_u32_e64 v45, s2, s5, v43, s2
	global_load_b64 v[42:43], v[42:43], off
	;; [unrolled: 4-line block ×11, first 2 shown]
	s_clause 0x1
	global_load_b64 v[67:68], v92, s[12:13] offset:4928
	global_load_b64 v[69:70], v92, s[12:13] offset:5280
	global_load_b64 v[65:66], v[65:66], off
	s_wait_loadcnt 0x12
	v_mul_f32_e32 v71, v1, v5
	v_mul_f32_e32 v72, v0, v5
	v_add_nc_u32_e32 v76, 0xc00, v59
	v_add_nc_u32_e32 v77, 0x1000, v59
	s_delay_alu instid0(VALU_DEP_4) | instskip(NEXT) | instid1(VALU_DEP_4)
	v_fmac_f32_e32 v71, v0, v4
	v_fma_f32 v72, v1, v4, -v72
	s_wait_loadcnt 0x11
	v_mul_f32_e32 v5, v3, v37
	s_wait_loadcnt 0x10
	v_dual_mul_f32 v37, v2, v37 :: v_dual_mul_f32 v0, v21, v7
	v_mul_f32_e32 v1, v20, v7
	s_delay_alu instid0(VALU_DEP_3)
	v_fmac_f32_e32 v5, v2, v36
	s_wait_loadcnt 0xf
	v_mul_f32_e32 v7, v23, v9
	v_dual_mul_f32 v2, v22, v9 :: v_dual_add_nc_u32 v75, 0x800, v59
	v_fmac_f32_e32 v0, v20, v6
	v_fma_f32 v1, v21, v6, -v1
	s_delay_alu instid0(VALU_DEP_4) | instskip(NEXT) | instid1(VALU_DEP_4)
	v_fmac_f32_e32 v7, v22, v8
	v_fma_f32 v8, v23, v8, -v2
	s_wait_loadcnt 0xe
	v_mul_f32_e32 v9, v39, v11
	v_mul_f32_e32 v4, v38, v11
	ds_store_b64 v73, v[71:72]
	s_wait_loadcnt 0xd
	v_mul_f32_e32 v6, v40, v13
	ds_store_2addr_b64 v59, v[0:1], v[7:8] offset0:44 offset1:88
	s_wait_loadcnt 0xc
	v_mul_f32_e32 v2, v42, v15
	s_wait_loadcnt 0xb
	v_mul_f32_e32 v0, v45, v17
	v_mul_f32_e32 v11, v41, v13
	s_delay_alu instid0(VALU_DEP_3) | instskip(NEXT) | instid1(VALU_DEP_3)
	v_fma_f32 v7, v43, v14, -v2
	v_fmac_f32_e32 v0, v44, v16
	s_delay_alu instid0(VALU_DEP_3)
	v_fmac_f32_e32 v11, v40, v12
	v_fma_f32 v12, v41, v12, -v6
	v_mul_f32_e32 v6, v43, v15
	s_wait_loadcnt 0xa
	v_mul_f32_e32 v8, v48, v19
	v_dual_mul_f32 v1, v44, v17 :: v_dual_mul_f32 v2, v47, v19
	s_delay_alu instid0(VALU_DEP_3) | instskip(NEXT) | instid1(VALU_DEP_3)
	v_fmac_f32_e32 v6, v42, v14
	v_fmac_f32_e32 v8, v47, v18
	;; [unrolled: 1-line block ×3, first 2 shown]
	v_fma_f32 v10, v39, v10, -v4
	s_wait_loadcnt 0x9
	v_mul_f32_e32 v4, v49, v25
	v_fma_f32 v1, v45, v16, -v1
	ds_store_2addr_b64 v59, v[9:10], v[11:12] offset0:132 offset1:176
	v_mul_f32_e32 v10, v50, v25
	v_fma_f32 v9, v48, v18, -v2
	ds_store_2addr_b64 v74, v[6:7], v[0:1] offset0:92 offset1:136
	s_wait_loadcnt 0x8
	v_mul_f32_e32 v1, v51, v27
	v_fma_f32 v11, v50, v24, -v4
	s_wait_loadcnt 0x7
	v_dual_fmac_f32 v10, v49, v24 :: v_dual_mul_f32 v7, v54, v29
	v_mul_f32_e32 v0, v52, v27
	v_mul_f32_e32 v2, v53, v29
	v_fma_f32 v1, v52, v26, -v1
	ds_store_2addr_b64 v75, v[8:9], v[10:11] offset0:52 offset1:96
	s_wait_loadcnt 0x6
	v_mul_f32_e32 v9, v56, v31
	v_dual_fmac_f32 v7, v53, v28 :: v_dual_fmac_f32 v0, v51, v26
	s_wait_loadcnt 0x5
	v_mul_f32_e32 v11, v58, v33
	v_fma_f32 v8, v54, v28, -v2
	v_mul_f32_e32 v2, v55, v31
	v_dual_mul_f32 v4, v57, v33 :: v_dual_fmac_f32 v9, v55, v30
	s_wait_loadcnt 0x4
	v_mul_f32_e32 v13, v62, v35
	v_fmac_f32_e32 v11, v57, v32
	v_fma_f32 v10, v56, v30, -v2
	v_fma_f32 v12, v58, v32, -v4
	s_wait_loadcnt 0x2
	v_mul_f32_e32 v4, v63, v68
	v_dual_mul_f32 v2, v61, v35 :: v_dual_mul_f32 v15, v64, v68
	s_wait_loadcnt 0x0
	v_mul_f32_e32 v17, v66, v70
	v_mul_f32_e32 v6, v65, v70
	v_fmac_f32_e32 v13, v61, v34
	v_fma_f32 v14, v62, v34, -v2
	v_fmac_f32_e32 v15, v63, v67
	v_fma_f32 v16, v64, v67, -v4
	v_fmac_f32_e32 v17, v65, v69
	v_fma_f32 v18, v66, v69, -v6
	v_fma_f32 v6, v3, v36, -v37
	ds_store_2addr_b64 v75, v[0:1], v[7:8] offset0:140 offset1:184
	ds_store_2addr_b64 v76, v[9:10], v[11:12] offset0:100 offset1:144
	;; [unrolled: 1-line block ×4, first 2 shown]
.LBB0_3:
	s_or_b32 exec_lo, exec_lo, s3
	v_mov_b32_e32 v4, 0
	v_mov_b32_e32 v5, 0
	global_wb scope:SCOPE_SE
	s_wait_dscnt 0x0
	s_wait_kmcnt 0x0
	s_barrier_signal -1
	s_barrier_wait -1
	global_inv scope:SCOPE_SE
                                        ; implicit-def: $vgpr18
                                        ; implicit-def: $vgpr8
                                        ; implicit-def: $vgpr12
                                        ; implicit-def: $vgpr44
                                        ; implicit-def: $vgpr22
                                        ; implicit-def: $vgpr26
                                        ; implicit-def: $vgpr34
                                        ; implicit-def: $vgpr30
	s_and_saveexec_b32 s2, vcc_lo
	s_cbranch_execz .LBB0_5
; %bb.4:
	v_lshl_add_u32 v0, v46, 3, v92
	ds_load_2addr_b64 v[4:7], v0 offset1:44
	ds_load_2addr_b64 v[28:31], v0 offset0:88 offset1:132
	v_add_nc_u32_e32 v1, 0x800, v0
	v_add_nc_u32_e32 v2, 0x1000, v0
	ds_load_2addr_b64 v[32:35], v0 offset0:176 offset1:220
	ds_load_2addr_b64 v[24:27], v1 offset0:8 offset1:52
	;; [unrolled: 1-line block ×6, first 2 shown]
	ds_load_b64 v[44:45], v0 offset:5632
.LBB0_5:
	s_wait_alu 0xfffe
	s_or_b32 exec_lo, exec_lo, s2
	s_wait_dscnt 0x0
	v_dual_sub_f32 v36, v7, v45 :: v_dual_sub_f32 v37, v6, v44
	v_dual_add_f32 v79, v44, v6 :: v_dual_add_f32 v80, v45, v7
	v_dual_add_f32 v71, v14, v28 :: v_dual_sub_f32 v40, v28, v14
	s_delay_alu instid0(VALU_DEP_3) | instskip(SKIP_2) | instid1(VALU_DEP_3)
	v_dual_mul_f32 v47, 0xbeb8f4ab, v36 :: v_dual_mul_f32 v48, 0xbeb8f4ab, v37
	v_dual_sub_f32 v41, v29, v15 :: v_dual_add_f32 v72, v15, v29
	v_mul_f32_e32 v53, 0xbf2c7751, v36
	v_fmamk_f32 v0, v79, 0x3f6eb680, v47
	s_delay_alu instid0(VALU_DEP_4) | instskip(NEXT) | instid1(VALU_DEP_4)
	v_fma_f32 v1, 0x3f6eb680, v80, -v48
	v_dual_mul_f32 v49, 0xbf2c7751, v41 :: v_dual_mul_f32 v50, 0xbf2c7751, v40
	v_dual_sub_f32 v43, v31, v13 :: v_dual_sub_f32 v42, v30, v12
	s_delay_alu instid0(VALU_DEP_3) | instskip(NEXT) | instid1(VALU_DEP_3)
	v_dual_add_f32 v0, v0, v4 :: v_dual_add_f32 v1, v1, v5
	v_dual_fmamk_f32 v2, v71, 0x3f3d2fb0, v49 :: v_dual_add_f32 v75, v12, v30
	s_delay_alu instid0(VALU_DEP_4) | instskip(NEXT) | instid1(VALU_DEP_4)
	v_fma_f32 v3, 0x3f3d2fb0, v72, -v50
	v_mul_f32_e32 v51, 0xbf65296c, v43
	v_dual_add_f32 v77, v13, v31 :: v_dual_mul_f32 v52, 0xbf65296c, v42
	s_delay_alu instid0(VALU_DEP_3) | instskip(SKIP_1) | instid1(VALU_DEP_4)
	v_dual_add_f32 v0, v2, v0 :: v_dual_add_f32 v1, v3, v1
	v_sub_f32_e32 v138, v33, v11
	v_dual_fmamk_f32 v2, v75, 0x3ee437d1, v51 :: v_dual_sub_f32 v95, v32, v10
	s_delay_alu instid0(VALU_DEP_4) | instskip(SKIP_1) | instid1(VALU_DEP_3)
	v_fma_f32 v3, 0x3ee437d1, v77, -v52
	v_dual_add_f32 v82, v10, v32 :: v_dual_add_f32 v83, v11, v33
	v_dual_mul_f32 v54, 0xbf7ee86f, v138 :: v_dual_mul_f32 v55, 0xbf7ee86f, v95
	s_delay_alu instid0(VALU_DEP_3) | instskip(NEXT) | instid1(VALU_DEP_2)
	v_dual_add_f32 v0, v2, v0 :: v_dual_add_f32 v1, v3, v1
	v_dual_sub_f32 v141, v35, v9 :: v_dual_fmamk_f32 v2, v82, 0x3dbcf732, v54
	s_delay_alu instid0(VALU_DEP_3) | instskip(SKIP_2) | instid1(VALU_DEP_4)
	v_fma_f32 v3, 0x3dbcf732, v83, -v55
	v_sub_f32_e32 v140, v34, v8
	v_dual_add_f32 v100, v9, v35 :: v_dual_add_f32 v101, v18, v24
	v_dual_mul_f32 v56, 0xbf763a35, v141 :: v_dual_sub_f32 v153, v25, v19
	s_delay_alu instid0(VALU_DEP_4) | instskip(NEXT) | instid1(VALU_DEP_4)
	v_dual_add_f32 v1, v3, v1 :: v_dual_add_f32 v98, v8, v34
	v_dual_mul_f32 v57, 0xbf763a35, v140 :: v_dual_sub_f32 v152, v24, v18
	v_dual_sub_f32 v157, v26, v16 :: v_dual_add_f32 v102, v19, v25
	s_delay_alu instid0(VALU_DEP_4) | instskip(NEXT) | instid1(VALU_DEP_3)
	v_dual_mul_f32 v58, 0xbf4c4adb, v153 :: v_dual_sub_f32 v163, v21, v23
	v_fma_f32 v3, 0xbe8c1d8e, v100, -v57
	v_add_f32_e32 v0, v2, v0
	v_dual_fmamk_f32 v2, v98, 0xbe8c1d8e, v56 :: v_dual_add_f32 v103, v16, v26
	v_mul_f32_e32 v59, 0xbf4c4adb, v152
	s_delay_alu instid0(VALU_DEP_4) | instskip(SKIP_1) | instid1(VALU_DEP_4)
	v_add_f32_e32 v1, v3, v1
	v_dual_sub_f32 v158, v27, v17 :: v_dual_sub_f32 v161, v20, v22
	v_add_f32_e32 v0, v2, v0
	s_delay_alu instid0(VALU_DEP_4) | instskip(SKIP_1) | instid1(VALU_DEP_4)
	v_fma_f32 v3, 0xbf1a4643, v102, -v59
	v_fmamk_f32 v2, v101, 0xbf1a4643, v58
	v_mul_f32_e32 v67, 0xbf06c442, v158
	v_add_f32_e32 v113, v23, v21
	v_dual_mul_f32 v70, 0xbe3c28d5, v161 :: v_dual_mul_f32 v85, 0xbe3c28d5, v138
	s_delay_alu instid0(VALU_DEP_4)
	v_dual_add_f32 v1, v3, v1 :: v_dual_add_f32 v0, v2, v0
	v_dual_add_f32 v104, v17, v27 :: v_dual_mul_f32 v89, 0xbf2c7751, v37
	v_fmamk_f32 v2, v103, 0xbf59a7d5, v67
	v_mul_f32_e32 v78, 0xbf7ee86f, v41
	v_fma_f32 v62, 0xbf7ba420, v113, -v70
	v_fmamk_f32 v38, v79, 0x3f3d2fb0, v53
	v_fma_f32 v39, 0x3f3d2fb0, v80, -v89
	v_add_f32_e32 v0, v2, v0
	v_mul_f32_e32 v96, 0xbf7ee86f, v40
	v_dual_mul_f32 v84, 0xbf4c4adb, v43 :: v_dual_mul_f32 v87, 0xbf4c4adb, v42
	v_add_f32_e32 v2, v38, v4
	v_fmamk_f32 v38, v71, 0x3dbcf732, v78
	v_dual_add_f32 v112, v22, v20 :: v_dual_mul_f32 v69, 0xbe3c28d5, v163
	v_mul_f32_e32 v88, 0xbe3c28d5, v95
	v_mul_f32_e32 v86, 0x3f06c442, v141
	s_delay_alu instid0(VALU_DEP_4)
	v_add_f32_e32 v2, v38, v2
	v_fma_f32 v38, 0x3dbcf732, v72, -v96
	v_mul_f32_e32 v68, 0xbf06c442, v157
	v_mul_f32_e32 v90, 0x3f06c442, v140
	v_fmamk_f32 v63, v98, 0xbf59a7d5, v86
	v_dual_mul_f32 v109, 0x3f763a35, v138 :: v_dual_mul_f32 v118, 0x3f763a35, v95
	s_delay_alu instid0(VALU_DEP_4) | instskip(SKIP_3) | instid1(VALU_DEP_4)
	v_fma_f32 v3, 0xbf59a7d5, v104, -v68
	v_mul_f32_e32 v97, 0x3f763a35, v152
	v_mul_f32_e32 v81, 0x3eb8f4ab, v163
	v_dual_mul_f32 v127, 0xbe3c28d5, v41 :: v_dual_mul_f32 v136, 0xbe3c28d5, v40
	v_add_f32_e32 v1, v3, v1
	v_add_f32_e32 v3, v39, v5
	v_fmamk_f32 v39, v75, 0xbf1a4643, v84
	v_fmamk_f32 v61, v112, 0xbf7ba420, v69
	v_fma_f32 v64, 0xbe8c1d8e, v83, -v118
	s_delay_alu instid0(VALU_DEP_4) | instskip(NEXT) | instid1(VALU_DEP_4)
	v_dual_mul_f32 v74, 0x3f65296c, v158 :: v_dual_add_f32 v3, v38, v3
	v_add_f32_e32 v2, v39, v2
	v_fma_f32 v38, 0xbf1a4643, v77, -v87
	v_fmamk_f32 v39, v82, 0xbf7ba420, v85
	v_mul_f32_e32 v76, 0x3f65296c, v157
	v_mul_f32_e32 v115, 0xbf65296c, v37
	v_fmamk_f32 v65, v71, 0xbf7ba420, v127
	s_delay_alu instid0(VALU_DEP_4) | instskip(SKIP_3) | instid1(VALU_DEP_4)
	v_dual_add_f32 v3, v38, v3 :: v_dual_add_f32 v38, v39, v2
	v_fma_f32 v39, 0xbf7ba420, v83, -v88
	v_dual_mul_f32 v73, 0x3f763a35, v153 :: v_dual_add_f32 v2, v61, v0
	v_mul_f32_e32 v110, 0xbf4c4adb, v41
	v_add_f32_e32 v38, v63, v38
	s_delay_alu instid0(VALU_DEP_4) | instskip(SKIP_4) | instid1(VALU_DEP_4)
	v_add_f32_e32 v0, v39, v3
	v_fma_f32 v39, 0xbf59a7d5, v100, -v90
	v_fmamk_f32 v61, v101, 0xbe8c1d8e, v73
	v_add_f32_e32 v3, v62, v1
	v_fma_f32 v1, 0xbe8c1d8e, v102, -v97
	v_dual_fmamk_f32 v63, v112, 0x3f6eb680, v81 :: v_dual_add_f32 v0, v39, v0
	s_delay_alu instid0(VALU_DEP_4) | instskip(SKIP_2) | instid1(VALU_DEP_4)
	v_dual_add_f32 v38, v61, v38 :: v_dual_fmamk_f32 v39, v103, 0x3ee437d1, v74
	v_fma_f32 v61, 0x3ee437d1, v80, -v115
	v_mul_f32_e32 v116, 0xbf4c4adb, v40
	v_dual_add_f32 v0, v1, v0 :: v_dual_mul_f32 v111, 0x3e3c28d5, v43
	s_delay_alu instid0(VALU_DEP_4)
	v_add_f32_e32 v1, v39, v38
	v_mul_f32_e32 v107, 0xbf65296c, v36
	v_fma_f32 v38, 0x3ee437d1, v104, -v76
	v_add_f32_e32 v61, v61, v5
	v_fma_f32 v62, 0xbf1a4643, v72, -v116
	v_dual_mul_f32 v105, 0x3f2c7751, v141 :: v_dual_mul_f32 v120, 0x3f2c7751, v140
	s_delay_alu instid0(VALU_DEP_4) | instskip(SKIP_2) | instid1(VALU_DEP_3)
	v_dual_fmamk_f32 v39, v79, 0x3ee437d1, v107 :: v_dual_add_f32 v38, v38, v0
	v_dual_mul_f32 v106, 0xbeb8f4ab, v153 :: v_dual_mul_f32 v119, 0xbeb8f4ab, v152
	v_dual_mul_f32 v108, 0xbf7ee86f, v158 :: v_dual_mul_f32 v121, 0xbf7ee86f, v157
	v_add_f32_e32 v0, v39, v4
	v_fmamk_f32 v39, v71, 0xbf1a4643, v110
	v_mul_f32_e32 v117, 0x3e3c28d5, v42
	v_mul_f32_e32 v135, 0xbf7ee86f, v37
	v_fma_f32 v66, 0xbf7ba420, v72, -v136
	s_delay_alu instid0(VALU_DEP_4)
	v_dual_mul_f32 v123, 0x3f763a35, v43 :: v_dual_add_f32 v0, v39, v0
	v_add_f32_e32 v39, v62, v61
	v_fmamk_f32 v61, v75, 0xbf7ba420, v111
	v_fma_f32 v62, 0xbf7ba420, v77, -v117
	v_mul_f32_e32 v124, 0xbf7ee86f, v36
	v_mul_f32_e32 v137, 0x3f763a35, v42
	;; [unrolled: 1-line block ×3, first 2 shown]
	v_add_f32_e32 v61, v61, v0
	v_add_f32_e32 v39, v62, v39
	v_fmamk_f32 v62, v82, 0xbe8c1d8e, v109
	v_dual_add_f32 v0, v63, v1 :: v_dual_mul_f32 v125, 0x3eb8f4ab, v138
	v_mul_f32_e32 v134, 0x3eb8f4ab, v95
	s_delay_alu instid0(VALU_DEP_4) | instskip(NEXT) | instid1(VALU_DEP_4)
	v_add_f32_e32 v39, v64, v39
	v_add_f32_e32 v1, v62, v61
	v_fma_f32 v62, 0x3f3d2fb0, v100, -v120
	v_fmamk_f32 v61, v98, 0x3f3d2fb0, v105
	v_mul_f32_e32 v146, 0xbf65296c, v138
	v_mul_f32_e32 v148, 0xbeb8f4ab, v158
	s_delay_alu instid0(VALU_DEP_4) | instskip(SKIP_1) | instid1(VALU_DEP_3)
	v_dual_mul_f32 v130, 0xbf65296c, v140 :: v_dual_add_f32 v39, v62, v39
	v_fma_f32 v62, 0x3f6eb680, v102, -v119
	v_dual_add_f32 v1, v61, v1 :: v_dual_fmamk_f32 v160, v103, 0x3f6eb680, v148
	v_fmamk_f32 v144, v82, 0x3ee437d1, v146
	s_delay_alu instid0(VALU_DEP_3)
	v_dual_mul_f32 v142, 0xbf763a35, v36 :: v_dual_add_f32 v39, v62, v39
	v_fma_f32 v62, 0x3dbcf732, v104, -v121
	v_fmamk_f32 v64, v103, 0x3dbcf732, v108
	v_mul_f32_e32 v129, 0xbf06c442, v153
	v_mul_f32_e32 v131, 0xbf06c442, v152
	v_dual_mul_f32 v128, 0x3f4c4adb, v158 :: v_dual_mul_f32 v133, 0x3f4c4adb, v157
	v_add_f32_e32 v39, v62, v39
	v_fma_f32 v62, 0x3dbcf732, v80, -v135
	v_dual_mul_f32 v145, 0x3f2c7751, v43 :: v_dual_mul_f32 v156, 0x3f2c7751, v42
	v_dual_mul_f32 v169, 0x3f763a35, v41 :: v_dual_mul_f32 v176, 0x3f763a35, v40
	s_delay_alu instid0(VALU_DEP_3)
	v_add_f32_e32 v62, v62, v5
	v_mul_f32_e32 v99, 0x3eb8f4ab, v161
	v_mul_f32_e32 v149, 0xbf65296c, v95
	;; [unrolled: 1-line block ×3, first 2 shown]
	v_fma_f32 v162, 0xbe8c1d8e, v72, -v176
	v_dual_add_f32 v62, v66, v62 :: v_dual_fmamk_f32 v61, v101, 0x3f6eb680, v106
	v_fma_f32 v63, 0x3f6eb680, v113, -v99
	v_fma_f32 v66, 0x3ee437d1, v100, -v130
	v_mul_f32_e32 v147, 0xbe3c28d5, v141
	s_delay_alu instid0(VALU_DEP_4) | instskip(NEXT) | instid1(VALU_DEP_4)
	v_dual_mul_f32 v150, 0x3f7ee86f, v152 :: v_dual_add_f32 v61, v61, v1
	v_dual_add_f32 v1, v63, v38 :: v_dual_mul_f32 v174, 0xbf4c4adb, v37
	v_dual_mul_f32 v170, 0xbeb8f4ab, v43 :: v_dual_mul_f32 v177, 0xbeb8f4ab, v42
	s_delay_alu instid0(VALU_DEP_3) | instskip(SKIP_4) | instid1(VALU_DEP_3)
	v_add_f32_e32 v38, v64, v61
	v_mul_f32_e32 v114, 0xbf06c442, v163
	v_fmamk_f32 v61, v79, 0x3dbcf732, v124
	v_dual_mul_f32 v171, 0xbf06c442, v138 :: v_dual_mul_f32 v178, 0xbf06c442, v95
	v_dual_mul_f32 v168, 0xbf2c7751, v153 :: v_dual_mul_f32 v173, 0xbf2c7751, v152
	v_dual_fmamk_f32 v63, v112, 0xbf59a7d5, v114 :: v_dual_add_f32 v64, v61, v4
	v_mul_f32_e32 v166, 0xbf4c4adb, v36
	v_mul_f32_e32 v165, 0xbe3c28d5, v158
	s_delay_alu instid0(VALU_DEP_4) | instskip(NEXT) | instid1(VALU_DEP_4)
	v_fma_f32 v172, 0x3f3d2fb0, v102, -v173
	v_dual_add_f32 v61, v63, v38 :: v_dual_add_f32 v38, v65, v64
	v_fmamk_f32 v63, v75, 0xbe8c1d8e, v123
	v_fma_f32 v64, 0xbe8c1d8e, v77, -v137
	v_mul_f32_e32 v179, 0x3f7ee86f, v140
	v_mul_f32_e32 v189, 0xbe3c28d5, v152
	;; [unrolled: 1-line block ×3, first 2 shown]
	v_add_f32_e32 v38, v63, v38
	v_dual_add_f32 v62, v64, v62 :: v_dual_fmamk_f32 v63, v82, 0x3f6eb680, v125
	v_fma_f32 v64, 0x3f6eb680, v83, -v134
	v_mul_f32_e32 v122, 0xbf06c442, v161
	v_fma_f32 v201, 0xbf7ba420, v102, -v189
	v_mul_f32_e32 v192, 0x3f65296c, v40
	v_add_f32_e32 v38, v63, v38
	v_dual_add_f32 v63, v64, v62 :: v_dual_mul_f32 v126, 0xbf65296c, v141
	v_fma_f32 v65, 0xbf59a7d5, v113, -v122
	v_mul_f32_e32 v190, 0xbf06c442, v37
	v_mul_f32_e32 v186, 0x3f4c4adb, v138
	;; [unrolled: 1-line block ×3, first 2 shown]
	v_dual_mul_f32 v138, 0x3f2c7751, v138 :: v_dual_mul_f32 v95, 0x3f2c7751, v95
	v_add_f32_e32 v62, v65, v39
	v_add_f32_e32 v39, v66, v63
	v_fmamk_f32 v65, v79, 0xbe8c1d8e, v142
	v_fmamk_f32 v64, v98, 0x3ee437d1, v126
	;; [unrolled: 1-line block ×3, first 2 shown]
	v_fma_f32 v188, 0xbf1a4643, v83, -v194
	s_load_b64 s[2:3], s[0:1], 0x20
	global_wb scope:SCOPE_SE
	v_add_f32_e32 v38, v64, v38
	v_fma_f32 v64, 0xbf59a7d5, v102, -v131
	s_wait_kmcnt 0x0
	s_barrier_signal -1
	s_barrier_wait -1
	global_inv scope:SCOPE_SE
	v_dual_add_f32 v38, v63, v38 :: v_dual_add_f32 v39, v64, v39
	v_fmamk_f32 v63, v103, 0xbf1a4643, v128
	v_fma_f32 v64, 0xbf1a4643, v104, -v133
	s_delay_alu instid0(VALU_DEP_1) | instskip(SKIP_4) | instid1(VALU_DEP_4)
	v_dual_add_f32 v38, v63, v38 :: v_dual_add_f32 v39, v64, v39
	v_dual_add_f32 v63, v65, v4 :: v_dual_fmamk_f32 v64, v71, 0xbf59a7d5, v143
	v_mul_f32_e32 v154, 0xbf763a35, v37
	v_mul_f32_e32 v155, 0x3f06c442, v40
	v_mul_f32_e32 v132, 0x3f2c7751, v163
	v_dual_fmamk_f32 v66, v75, 0x3f3d2fb0, v145 :: v_dual_add_f32 v63, v64, v63
	s_delay_alu instid0(VALU_DEP_4) | instskip(SKIP_1) | instid1(VALU_DEP_2)
	v_fma_f32 v65, 0xbe8c1d8e, v80, -v154
	v_mul_f32_e32 v40, 0x3eb8f4ab, v40
	v_dual_fmamk_f32 v139, v112, 0x3f3d2fb0, v132 :: v_dual_add_f32 v64, v65, v5
	v_fma_f32 v65, 0xbf59a7d5, v72, -v155
	s_delay_alu instid0(VALU_DEP_1) | instskip(SKIP_1) | instid1(VALU_DEP_1)
	v_dual_add_f32 v64, v65, v64 :: v_dual_add_f32 v65, v66, v63
	v_fma_f32 v66, 0x3f3d2fb0, v77, -v156
	v_dual_add_f32 v63, v139, v38 :: v_dual_add_f32 v38, v66, v64
	s_delay_alu instid0(VALU_DEP_3) | instskip(SKIP_2) | instid1(VALU_DEP_2)
	v_add_f32_e32 v64, v144, v65
	v_fmamk_f32 v66, v98, 0xbf7ba420, v147
	v_fma_f32 v65, 0x3ee437d1, v83, -v149
	v_add_f32_e32 v64, v66, v64
	v_mul_f32_e32 v144, 0x3f7ee86f, v153
	s_delay_alu instid0(VALU_DEP_3) | instskip(SKIP_1) | instid1(VALU_DEP_3)
	v_add_f32_e32 v38, v65, v38
	v_fma_f32 v65, 0xbf7ba420, v100, -v151
	v_fmamk_f32 v66, v101, 0x3dbcf732, v144
	s_delay_alu instid0(VALU_DEP_1) | instskip(SKIP_1) | instid1(VALU_DEP_1)
	v_dual_add_f32 v38, v65, v38 :: v_dual_add_f32 v65, v66, v64
	v_fma_f32 v66, 0x3dbcf732, v102, -v150
	v_add_f32_e32 v38, v66, v38
	v_fma_f32 v66, 0xbf1a4643, v80, -v174
	s_delay_alu instid0(VALU_DEP_1) | instskip(NEXT) | instid1(VALU_DEP_1)
	v_add_f32_e32 v66, v66, v5
	v_add_f32_e32 v66, v162, v66
	v_fma_f32 v162, 0x3f6eb680, v77, -v177
	s_delay_alu instid0(VALU_DEP_1) | instskip(NEXT) | instid1(VALU_DEP_1)
	v_dual_mul_f32 v139, 0x3f2c7751, v161 :: v_dual_add_f32 v66, v162, v66
	v_fma_f32 v159, 0x3f3d2fb0, v113, -v139
	v_fmamk_f32 v162, v82, 0xbf59a7d5, v171
	s_delay_alu instid0(VALU_DEP_2) | instskip(SKIP_1) | instid1(VALU_DEP_2)
	v_dual_add_f32 v64, v159, v39 :: v_dual_mul_f32 v159, 0xbeb8f4ab, v157
	v_add_f32_e32 v39, v160, v65
	v_fma_f32 v164, 0x3f6eb680, v104, -v159
	s_delay_alu instid0(VALU_DEP_1) | instskip(SKIP_2) | instid1(VALU_DEP_2)
	v_add_f32_e32 v38, v164, v38
	v_fma_f32 v164, 0xbf59a7d5, v83, -v178
	v_fmamk_f32 v65, v79, 0xbf1a4643, v166
	v_dual_fmamk_f32 v181, v103, 0xbf7ba420, v165 :: v_dual_add_f32 v66, v164, v66
	v_fma_f32 v164, 0x3dbcf732, v100, -v179
	s_delay_alu instid0(VALU_DEP_3) | instskip(NEXT) | instid1(VALU_DEP_2)
	v_add_f32_e32 v65, v65, v4
	v_dual_mul_f32 v167, 0x3f7ee86f, v141 :: v_dual_add_f32 v66, v164, v66
	v_fmamk_f32 v164, v101, 0x3f3d2fb0, v168
	v_fmamk_f32 v160, v71, 0xbe8c1d8e, v169
	s_delay_alu instid0(VALU_DEP_3) | instskip(NEXT) | instid1(VALU_DEP_2)
	v_dual_add_f32 v66, v172, v66 :: v_dual_mul_f32 v175, 0xbe3c28d5, v157
	v_dual_add_f32 v65, v160, v65 :: v_dual_fmamk_f32 v160, v75, 0x3f6eb680, v170
	v_mul_f32_e32 v172, 0x3f65296c, v161
	s_delay_alu instid0(VALU_DEP_3) | instskip(NEXT) | instid1(VALU_DEP_3)
	v_fma_f32 v183, 0xbf7ba420, v104, -v175
	v_add_f32_e32 v65, v160, v65
	s_delay_alu instid0(VALU_DEP_3) | instskip(NEXT) | instid1(VALU_DEP_3)
	v_fma_f32 v198, 0x3ee437d1, v113, -v172
	v_add_f32_e32 v196, v183, v66
	s_delay_alu instid0(VALU_DEP_3)
	v_dual_fmamk_f32 v66, v79, 0xbf59a7d5, v180 :: v_dual_add_f32 v65, v162, v65
	v_fmamk_f32 v162, v98, 0x3dbcf732, v167
	v_mul_f32_e32 v160, 0xbf4c4adb, v163
	v_fma_f32 v183, 0x3ee437d1, v72, -v192
	v_mul_f32_e32 v185, 0xbf7ee86f, v43
	v_mul_f32_e32 v43, 0xbf06c442, v43
	s_delay_alu instid0(VALU_DEP_4) | instskip(NEXT) | instid1(VALU_DEP_1)
	v_dual_add_f32 v65, v162, v65 :: v_dual_fmamk_f32 v182, v112, 0xbf1a4643, v160
	v_dual_add_f32 v65, v164, v65 :: v_dual_mul_f32 v164, 0x3f65296c, v163
	s_delay_alu instid0(VALU_DEP_1) | instskip(SKIP_1) | instid1(VALU_DEP_3)
	v_add_f32_e32 v191, v181, v65
	v_mul_f32_e32 v181, 0x3f65296c, v41
	v_fmamk_f32 v197, v112, 0x3ee437d1, v164
	v_add_f32_e32 v65, v182, v39
	v_add_f32_e32 v39, v66, v4
	v_mul_f32_e32 v41, 0x3eb8f4ab, v41
	v_fmamk_f32 v182, v71, 0x3ee437d1, v181
	v_mul_f32_e32 v193, 0xbf7ee86f, v42
	s_delay_alu instid0(VALU_DEP_2) | instskip(SKIP_1) | instid1(VALU_DEP_1)
	v_dual_mul_f32 v42, 0xbf06c442, v42 :: v_dual_add_f32 v39, v182, v39
	v_fmamk_f32 v182, v75, 0x3dbcf732, v185
	v_dual_mul_f32 v162, 0xbf4c4adb, v161 :: v_dual_add_f32 v39, v182, v39
	s_delay_alu instid0(VALU_DEP_1) | instskip(SKIP_1) | instid1(VALU_DEP_2)
	v_fma_f32 v184, 0xbf1a4643, v113, -v162
	v_fmamk_f32 v182, v82, 0xbf1a4643, v186
	v_add_f32_e32 v66, v184, v38
	v_fma_f32 v38, 0xbf59a7d5, v80, -v190
	s_delay_alu instid0(VALU_DEP_3) | instskip(SKIP_1) | instid1(VALU_DEP_3)
	v_dual_add_f32 v39, v182, v39 :: v_dual_mul_f32 v184, 0xbe3c28d5, v153
	v_mul_f32_e32 v153, 0x3f65296c, v153
	v_add_f32_e32 v38, v38, v5
	s_delay_alu instid0(VALU_DEP_1) | instskip(SKIP_2) | instid1(VALU_DEP_2)
	v_add_f32_e32 v38, v183, v38
	v_fma_f32 v183, 0x3dbcf732, v77, -v193
	v_mul_f32_e32 v187, 0xbeb8f4ab, v141
	v_dual_mul_f32 v141, 0xbf4c4adb, v141 :: v_dual_add_f32 v38, v183, v38
	s_delay_alu instid0(VALU_DEP_2) | instskip(SKIP_3) | instid1(VALU_DEP_4)
	v_fmamk_f32 v182, v98, 0x3f6eb680, v187
	v_mul_f32_e32 v195, 0xbeb8f4ab, v140
	v_mul_f32_e32 v183, 0x3f2c7751, v158
	;; [unrolled: 1-line block ×3, first 2 shown]
	v_dual_add_f32 v38, v188, v38 :: v_dual_add_f32 v39, v182, v39
	v_fmamk_f32 v182, v101, 0xbf7ba420, v184
	v_fma_f32 v188, 0x3f6eb680, v100, -v195
	s_delay_alu instid0(VALU_DEP_2) | instskip(SKIP_1) | instid1(VALU_DEP_3)
	v_add_f32_e32 v39, v182, v39
	v_mul_f32_e32 v182, 0xbf763a35, v163
	v_add_f32_e32 v200, v188, v38
	v_mul_f32_e32 v188, 0x3f2c7751, v157
	s_delay_alu instid0(VALU_DEP_3) | instskip(SKIP_1) | instid1(VALU_DEP_1)
	v_dual_add_f32 v38, v197, v191 :: v_dual_fmamk_f32 v197, v112, 0xbe8c1d8e, v182
	v_fmamk_f32 v199, v103, 0x3f3d2fb0, v183
	v_add_f32_e32 v191, v199, v39
	v_add_f32_e32 v199, v201, v200
	v_fma_f32 v200, 0x3f3d2fb0, v104, -v188
	v_mul_f32_e32 v37, 0xbe3c28d5, v37
	v_mul_f32_e32 v201, 0xbe3c28d5, v36
	s_delay_alu instid0(VALU_DEP_3) | instskip(NEXT) | instid1(VALU_DEP_3)
	v_dual_add_f32 v39, v198, v196 :: v_dual_add_f32 v196, v200, v199
	v_fmamk_f32 v198, v80, 0xbf7ba420, v37
	v_fma_f32 v37, 0xbf7ba420, v80, -v37
	v_fma_f32 v199, 0x3f6eb680, v71, -v41
	v_dual_fmamk_f32 v200, v72, 0x3f6eb680, v40 :: v_dual_fmac_f32 v41, 0x3f6eb680, v71
	v_fma_f32 v40, 0x3f6eb680, v72, -v40
	s_delay_alu instid0(VALU_DEP_4)
	v_add_f32_e32 v37, v37, v5
	v_add_f32_e32 v198, v198, v5
	;; [unrolled: 1-line block ×3, first 2 shown]
	v_fma_f32 v197, 0xbf7ba420, v79, -v201
	v_fmac_f32_e32 v201, 0xbf7ba420, v79
	v_dual_mul_f32 v140, 0xbf4c4adb, v140 :: v_dual_add_f32 v37, v40, v37
	s_delay_alu instid0(VALU_DEP_3) | instskip(SKIP_1) | instid1(VALU_DEP_4)
	v_dual_add_f32 v198, v200, v198 :: v_dual_add_f32 v197, v197, v4
	v_fmamk_f32 v200, v77, 0xbf59a7d5, v42
	v_add_f32_e32 v201, v201, v4
	v_fma_f32 v40, 0xbf59a7d5, v77, -v42
	s_delay_alu instid0(VALU_DEP_4) | instskip(SKIP_2) | instid1(VALU_DEP_4)
	v_dual_mul_f32 v152, 0x3f65296c, v152 :: v_dual_add_f32 v197, v199, v197
	v_fma_f32 v199, 0xbf59a7d5, v75, -v43
	v_fmac_f32_e32 v43, 0xbf59a7d5, v75
	v_add_f32_e32 v37, v40, v37
	v_add_f32_e32 v198, v200, v198
	v_dual_fmamk_f32 v200, v83, 0x3f3d2fb0, v95 :: v_dual_add_f32 v41, v41, v201
	v_add_f32_e32 v197, v199, v197
	v_fma_f32 v199, 0x3f3d2fb0, v82, -v138
	v_fma_f32 v40, 0x3f3d2fb0, v83, -v95
	s_delay_alu instid0(VALU_DEP_4) | instskip(SKIP_1) | instid1(VALU_DEP_4)
	v_dual_add_f32 v198, v200, v198 :: v_dual_add_f32 v41, v43, v41
	v_fma_f32 v43, 0xbe8c1d8e, v103, -v158
	v_add_f32_e32 v197, v199, v197
	v_fma_f32 v199, 0xbf1a4643, v98, -v141
	v_add_f32_e32 v37, v40, v37
	v_fma_f32 v40, 0xbf1a4643, v100, -v140
	v_mul_f32_e32 v191, 0xbf763a35, v161
	s_delay_alu instid0(VALU_DEP_4)
	v_add_f32_e32 v197, v199, v197
	v_fma_f32 v199, 0x3ee437d1, v101, -v153
	v_fmac_f32_e32 v153, 0x3ee437d1, v101
	v_fmac_f32_e32 v138, 0x3f3d2fb0, v82
	v_fmamk_f32 v200, v100, 0xbf1a4643, v140
	v_add_f32_e32 v37, v40, v37
	v_add_f32_e32 v197, v199, v197
	v_fma_f32 v40, 0x3ee437d1, v102, -v152
	s_delay_alu instid0(VALU_DEP_4) | instskip(NEXT) | instid1(VALU_DEP_3)
	v_dual_add_f32 v41, v138, v41 :: v_dual_add_f32 v198, v200, v198
	v_dual_fmamk_f32 v200, v102, 0x3ee437d1, v152 :: v_dual_add_f32 v43, v43, v197
	v_fmac_f32_e32 v141, 0xbf1a4643, v98
	s_delay_alu instid0(VALU_DEP_4) | instskip(NEXT) | instid1(VALU_DEP_3)
	v_dual_mul_f32 v138, 0x3f7ee86f, v163 :: v_dual_add_f32 v37, v40, v37
	v_add_f32_e32 v198, v200, v198
	s_delay_alu instid0(VALU_DEP_3) | instskip(SKIP_3) | instid1(VALU_DEP_4)
	v_dual_fmac_f32 v158, 0xbe8c1d8e, v103 :: v_dual_add_f32 v41, v141, v41
	v_mul_f32_e32 v42, 0xbf763a35, v157
	v_fma_f32 v202, 0xbe8c1d8e, v113, -v191
	v_mul_f32_e32 v140, 0x3f7ee86f, v161
	v_add_f32_e32 v41, v153, v41
	s_delay_alu instid0(VALU_DEP_1) | instskip(NEXT) | instid1(VALU_DEP_1)
	v_dual_fmamk_f32 v95, v104, 0xbe8c1d8e, v42 :: v_dual_add_f32 v152, v158, v41
	v_add_f32_e32 v95, v95, v198
	v_fma_f32 v40, 0xbe8c1d8e, v104, -v42
	v_fma_f32 v42, 0x3dbcf732, v112, -v138
	s_delay_alu instid0(VALU_DEP_2)
	v_add_f32_e32 v153, v40, v37
	v_add_f32_e32 v37, v202, v196
	v_fmamk_f32 v141, v113, 0x3dbcf732, v140
	v_fmac_f32_e32 v138, 0x3dbcf732, v112
	v_fma_f32 v140, 0x3dbcf732, v113, -v140
	v_add_f32_e32 v40, v42, v43
	s_delay_alu instid0(VALU_DEP_3) | instskip(NEXT) | instid1(VALU_DEP_3)
	v_dual_add_f32 v41, v141, v95 :: v_dual_add_f32 v42, v138, v152
	v_add_f32_e32 v43, v140, v153
	v_mul_lo_u16 v95, v93, 17
	s_and_saveexec_b32 s4, vcc_lo
	s_cbranch_execz .LBB0_7
; %bb.6:
	v_dual_mul_f32 v199, 0xbf59a7d5, v79 :: v_dual_mul_f32 v200, 0xbf59a7d5, v80
	v_mul_f32_e32 v153, 0x3ee437d1, v79
	v_mul_f32_e32 v138, 0x3f6eb680, v79
	v_dual_mul_f32 v141, 0x3f3d2fb0, v79 :: v_dual_mul_f32 v152, 0x3f3d2fb0, v80
	s_delay_alu instid0(VALU_DEP_4)
	v_add_f32_e32 v190, v190, v200
	v_mul_f32_e32 v200, 0x3ee437d1, v72
	v_mul_f32_e32 v157, 0x3ee437d1, v80
	v_dual_mul_f32 v158, 0x3dbcf732, v79 :: v_dual_mul_f32 v161, 0x3dbcf732, v80
	v_dual_mul_f32 v163, 0xbe8c1d8e, v79 :: v_dual_mul_f32 v196, 0xbe8c1d8e, v80
	;; [unrolled: 1-line block ×3, first 2 shown]
	v_mul_f32_e32 v79, 0x3f3d2fb0, v71
	v_dual_mul_f32 v201, 0x3dbcf732, v71 :: v_dual_mul_f32 v202, 0x3dbcf732, v72
	v_dual_mul_f32 v203, 0xbf1a4643, v71 :: v_dual_mul_f32 v204, 0xbf1a4643, v72
	;; [unrolled: 1-line block ×4, first 2 shown]
	v_dual_mul_f32 v209, 0xbe8c1d8e, v71 :: v_dual_add_f32 v190, v190, v5
	v_dual_mul_f32 v71, 0x3ee437d1, v71 :: v_dual_add_f32 v192, v192, v200
	v_mul_f32_e32 v200, 0x3dbcf732, v77
	v_dual_mul_f32 v211, 0xbf1a4643, v75 :: v_dual_sub_f32 v180, v199, v180
	s_delay_alu instid0(VALU_DEP_3) | instskip(NEXT) | instid1(VALU_DEP_4)
	v_dual_mul_f32 v140, 0x3f6eb680, v80 :: v_dual_sub_f32 v71, v71, v181
	v_add_f32_e32 v190, v192, v190
	s_delay_alu instid0(VALU_DEP_4) | instskip(NEXT) | instid1(VALU_DEP_4)
	v_dual_add_f32 v192, v193, v200 :: v_dual_mul_f32 v193, 0xbf1a4643, v83
	v_dual_mul_f32 v213, 0xbf7ba420, v77 :: v_dual_add_f32 v180, v180, v4
	v_mul_f32_e32 v200, 0x3ee437d1, v77
	s_delay_alu instid0(VALU_DEP_3) | instskip(NEXT) | instid1(VALU_DEP_4)
	v_add_f32_e32 v190, v192, v190
	v_dual_add_f32 v192, v194, v193 :: v_dual_mul_f32 v193, 0x3f6eb680, v100
	v_mul_f32_e32 v199, 0x3f3d2fb0, v77
	v_mul_f32_e32 v181, 0x3f6eb680, v75
	s_delay_alu instid0(VALU_DEP_3) | instskip(NEXT) | instid1(VALU_DEP_4)
	v_dual_add_f32 v71, v71, v180 :: v_dual_add_f32 v190, v192, v190
	v_add_f32_e32 v192, v195, v193
	v_mul_f32_e32 v194, 0xbf7ba420, v75
	v_mul_f32_e32 v195, 0x3f3d2fb0, v75
	;; [unrolled: 1-line block ×4, first 2 shown]
	v_add_f32_e32 v190, v192, v190
	v_mul_f32_e32 v192, 0xbf7ba420, v102
	v_mul_f32_e32 v210, 0x3ee437d1, v75
	v_dual_mul_f32 v72, 0xbe8c1d8e, v72 :: v_dual_mul_f32 v193, 0xbe8c1d8e, v77
	s_delay_alu instid0(VALU_DEP_3) | instskip(SKIP_2) | instid1(VALU_DEP_4)
	v_dual_add_f32 v174, v174, v198 :: v_dual_add_f32 v189, v189, v192
	v_mul_f32_e32 v214, 0xbe8c1d8e, v75
	v_mul_f32_e32 v75, 0x3dbcf732, v75
	v_dual_mul_f32 v77, 0x3f6eb680, v77 :: v_dual_add_f32 v72, v176, v72
	v_mul_f32_e32 v215, 0xbe8c1d8e, v82
	s_delay_alu instid0(VALU_DEP_3) | instskip(SKIP_1) | instid1(VALU_DEP_4)
	v_dual_sub_f32 v166, v197, v166 :: v_dual_sub_f32 v75, v75, v185
	v_mul_f32_e32 v185, 0xbf1a4643, v82
	v_dual_mul_f32 v198, 0x3f6eb680, v83 :: v_dual_add_f32 v77, v177, v77
	s_delay_alu instid0(VALU_DEP_3) | instskip(NEXT) | instid1(VALU_DEP_3)
	v_dual_add_f32 v154, v154, v196 :: v_dual_add_f32 v71, v75, v71
	v_sub_f32_e32 v75, v185, v186
	v_mul_f32_e32 v192, 0x3dbcf732, v82
	v_add_f32_e32 v189, v189, v190
	v_mul_f32_e32 v185, 0xbf7ba420, v83
	v_mul_f32_e32 v177, 0xbe8c1d8e, v98
	v_dual_add_f32 v71, v75, v71 :: v_dual_mul_f32 v186, 0x3f6eb680, v98
	v_mul_f32_e32 v180, 0x3f3d2fb0, v104
	v_dual_sub_f32 v142, v163, v142 :: v_dual_mul_f32 v163, 0x3f6eb680, v103
	v_add_f32_e32 v154, v154, v5
	s_delay_alu instid0(VALU_DEP_3) | instskip(SKIP_3) | instid1(VALU_DEP_4)
	v_dual_sub_f32 v75, v186, v187 :: v_dual_add_f32 v180, v188, v180
	v_mul_f32_e32 v188, 0xbf7ba420, v82
	v_mul_f32_e32 v186, 0xbe8c1d8e, v83
	v_add_f32_e32 v156, v156, v199
	v_dual_add_f32 v71, v75, v71 :: v_dual_add_f32 v180, v180, v189
	v_mul_f32_e32 v189, 0xbe8c1d8e, v113
	v_mul_f32_e32 v190, 0x3dbcf732, v83
	;; [unrolled: 1-line block ×3, first 2 shown]
	v_dual_sub_f32 v169, v209, v169 :: v_dual_mul_f32 v196, 0xbf59a7d5, v104
	v_sub_f32_e32 v145, v195, v145
	v_add_f32_e32 v187, v191, v189
	v_mul_f32_e32 v191, 0xbf7ba420, v101
	v_mul_f32_e32 v189, 0x3f6eb680, v82
	v_dual_mul_f32 v195, 0xbf59a7d5, v112 :: v_dual_sub_f32 v146, v75, v146
	v_dual_sub_f32 v110, v203, v110 :: v_dual_add_f32 v89, v89, v152
	s_delay_alu instid0(VALU_DEP_4)
	v_sub_f32_e32 v176, v191, v184
	v_mul_f32_e32 v184, 0x3ee437d1, v83
	v_dual_mul_f32 v83, 0xbf59a7d5, v83 :: v_dual_add_f32 v174, v174, v5
	v_mul_f32_e32 v191, 0x3f3d2fb0, v100
	v_add_f32_e32 v155, v155, v208
	v_mul_f32_e32 v199, 0xbf1a4643, v104
	s_delay_alu instid0(VALU_DEP_4) | instskip(SKIP_1) | instid1(VALU_DEP_4)
	v_dual_add_f32 v83, v178, v83 :: v_dual_add_f32 v72, v72, v174
	v_sub_f32_e32 v143, v207, v143
	v_dual_add_f32 v154, v155, v154 :: v_dual_mul_f32 v155, 0xbf1a4643, v103
	v_mul_f32_e32 v207, 0xbf7ba420, v112
	s_delay_alu instid0(VALU_DEP_4) | instskip(SKIP_4) | instid1(VALU_DEP_4)
	v_add_f32_e32 v72, v77, v72
	v_mul_f32_e32 v174, 0x3f3d2fb0, v103
	v_mul_f32_e32 v77, 0xbe8c1d8e, v112
	;; [unrolled: 1-line block ×3, first 2 shown]
	v_sub_f32_e32 v107, v153, v107
	v_dual_add_f32 v83, v83, v72 :: v_dual_sub_f32 v174, v174, v183
	v_mul_f32_e32 v183, 0xbf59a7d5, v98
	v_dual_mul_f32 v82, 0xbf59a7d5, v82 :: v_dual_add_f32 v71, v176, v71
	v_dual_mul_f32 v176, 0xbe8c1d8e, v100 :: v_dual_sub_f32 v77, v77, v182
	v_dual_add_f32 v72, v187, v180 :: v_dual_mul_f32 v187, 0xbf1a4643, v101
	s_delay_alu instid0(VALU_DEP_3) | instskip(SKIP_2) | instid1(VALU_DEP_3)
	v_dual_add_f32 v71, v174, v71 :: v_dual_mul_f32 v174, 0x3dbcf732, v100
	v_mul_f32_e32 v178, 0xbf59a7d5, v100
	v_dual_mul_f32 v197, 0xbf1a4643, v102 :: v_dual_add_f32 v166, v166, v4
	v_dual_add_f32 v71, v77, v71 :: v_dual_add_f32 v174, v179, v174
	v_mul_f32_e32 v77, 0x3ee437d1, v100
	v_mul_f32_e32 v182, 0x3f3d2fb0, v98
	;; [unrolled: 1-line block ×3, first 2 shown]
	s_delay_alu instid0(VALU_DEP_4) | instskip(SKIP_4) | instid1(VALU_DEP_4)
	v_dual_add_f32 v166, v169, v166 :: v_dual_add_f32 v83, v174, v83
	v_mul_f32_e32 v174, 0x3f3d2fb0, v102
	v_dual_mul_f32 v100, 0xbf7ba420, v100 :: v_dual_sub_f32 v169, v181, v170
	v_sub_f32_e32 v82, v82, v171
	v_dual_mul_f32 v170, 0x3f6eb680, v101 :: v_dual_mul_f32 v181, 0x3f6eb680, v102
	v_dual_add_f32 v173, v173, v174 :: v_dual_mul_f32 v174, 0xbf7ba420, v104
	v_mul_f32_e32 v180, 0xbf7ba420, v98
	v_dual_add_f32 v166, v169, v166 :: v_dual_mul_f32 v169, 0xbf59a7d5, v101
	s_delay_alu instid0(VALU_DEP_3) | instskip(NEXT) | instid1(VALU_DEP_4)
	v_add_f32_e32 v83, v173, v83
	v_dual_mul_f32 v173, 0xbe8c1d8e, v101 :: v_dual_add_f32 v174, v175, v174
	v_mul_f32_e32 v98, 0x3dbcf732, v98
	v_mul_f32_e32 v175, 0xbe8c1d8e, v102
	v_add_f32_e32 v82, v82, v166
	s_delay_alu instid0(VALU_DEP_4)
	v_dual_add_f32 v100, v151, v100 :: v_dual_add_f32 v83, v174, v83
	v_mul_f32_e32 v174, 0x3ee437d1, v113
	v_sub_f32_e32 v98, v98, v167
	v_mul_f32_e32 v167, 0x3ee437d1, v103
	v_mul_f32_e32 v151, 0x3f3d2fb0, v112
	v_add_f32_e32 v142, v142, v4
	v_add_f32_e32 v172, v172, v174
	v_mul_f32_e32 v174, 0x3dbcf732, v101
	v_mul_f32_e32 v101, 0x3f3d2fb0, v101
	v_dual_mul_f32 v171, 0xbf59a7d5, v102 :: v_dual_mul_f32 v166, 0xbf59a7d5, v103
	v_dual_mul_f32 v102, 0x3dbcf732, v102 :: v_dual_add_f32 v149, v149, v184
	v_add_f32_e32 v82, v98, v82
	s_delay_alu instid0(VALU_DEP_4) | instskip(SKIP_4) | instid1(VALU_DEP_4)
	v_dual_mul_f32 v98, 0x3dbcf732, v103 :: v_dual_sub_f32 v101, v101, v168
	v_dual_mul_f32 v103, 0xbf7ba420, v103 :: v_dual_add_f32 v142, v143, v142
	v_dual_mul_f32 v143, 0x3f6eb680, v113 :: v_dual_add_f32 v154, v156, v154
	v_mul_f32_e32 v208, 0x3ee437d1, v104
	v_dual_mul_f32 v168, 0x3dbcf732, v104 :: v_dual_add_f32 v75, v172, v83
	v_add_f32_e32 v142, v145, v142
	s_delay_alu instid0(VALU_DEP_4) | instskip(SKIP_3) | instid1(VALU_DEP_4)
	v_add_f32_e32 v149, v149, v154
	v_dual_add_f32 v82, v101, v82 :: v_dual_sub_f32 v83, v103, v165
	v_dual_mul_f32 v104, 0x3f6eb680, v104 :: v_dual_add_f32 v101, v150, v102
	v_dual_mul_f32 v156, 0xbf7ba420, v113 :: v_dual_sub_f32 v103, v180, v147
	v_add_f32_e32 v100, v100, v149
	v_add_f32_e32 v102, v146, v142
	v_dual_add_f32 v142, v83, v82 :: v_dual_add_f32 v77, v130, v77
	v_add_f32_e32 v82, v135, v161
	v_mul_f32_e32 v184, 0x3f6eb680, v112
	v_dual_mul_f32 v154, 0xbf59a7d5, v113 :: v_dual_add_f32 v83, v101, v100
	v_mul_f32_e32 v145, 0x3f3d2fb0, v113
	v_dual_mul_f32 v113, 0xbf1a4643, v113 :: v_dual_add_f32 v100, v159, v104
	v_dual_add_f32 v101, v103, v102 :: v_dual_sub_f32 v102, v174, v144
	v_dual_add_f32 v82, v82, v5 :: v_dual_add_f32 v103, v136, v206
	s_delay_alu instid0(VALU_DEP_3) | instskip(NEXT) | instid1(VALU_DEP_4)
	v_dual_mul_f32 v112, 0x3ee437d1, v112 :: v_dual_add_f32 v83, v100, v83
	v_add_f32_e32 v100, v162, v113
	v_add_f32_e32 v113, v115, v157
	v_dual_add_f32 v101, v102, v101 :: v_dual_sub_f32 v102, v163, v148
	v_dual_add_f32 v82, v103, v82 :: v_dual_add_f32 v103, v137, v193
	s_delay_alu instid0(VALU_DEP_4) | instskip(SKIP_1) | instid1(VALU_DEP_4)
	v_add_f32_e32 v83, v100, v83
	v_sub_f32_e32 v104, v112, v164
	v_add_f32_e32 v100, v102, v101
	v_add_f32_e32 v101, v134, v198
	;; [unrolled: 1-line block ×3, first 2 shown]
	v_dual_sub_f32 v112, v158, v124 :: v_dual_add_f32 v115, v133, v199
	v_sub_f32_e32 v103, v205, v127
	s_delay_alu instid0(VALU_DEP_3) | instskip(SKIP_3) | instid1(VALU_DEP_4)
	v_dual_add_f32 v107, v107, v4 :: v_dual_add_f32 v82, v101, v82
	v_sub_f32_e32 v53, v141, v53
	v_dual_add_f32 v87, v87, v212 :: v_dual_add_f32 v88, v88, v185
	v_add_f32_e32 v7, v7, v5
	v_dual_add_f32 v77, v77, v82 :: v_dual_add_f32 v82, v131, v171
	v_add_f32_e32 v102, v112, v4
	v_sub_f32_e32 v112, v209, v160
	s_delay_alu instid0(VALU_DEP_4) | instskip(NEXT) | instid1(VALU_DEP_4)
	v_dual_add_f32 v6, v6, v4 :: v_dual_add_f32 v7, v29, v7
	v_add_f32_e32 v77, v82, v77
	s_delay_alu instid0(VALU_DEP_4) | instskip(SKIP_3) | instid1(VALU_DEP_4)
	v_dual_add_f32 v101, v103, v102 :: v_dual_sub_f32 v102, v214, v123
	v_add_f32_e32 v103, v113, v5
	v_add_f32_e32 v113, v116, v204
	v_dual_add_f32 v6, v28, v6 :: v_dual_add_f32 v7, v31, v7
	v_add_f32_e32 v101, v102, v101
	v_sub_f32_e32 v102, v189, v125
	s_delay_alu instid0(VALU_DEP_4) | instskip(SKIP_2) | instid1(VALU_DEP_4)
	v_add_f32_e32 v103, v113, v103
	v_dual_add_f32 v113, v117, v213 :: v_dual_add_f32 v76, v76, v208
	v_dual_add_f32 v6, v30, v6 :: v_dual_add_f32 v7, v33, v7
	v_dual_add_f32 v101, v102, v101 :: v_dual_sub_f32 v102, v179, v126
	s_delay_alu instid0(VALU_DEP_3) | instskip(SKIP_2) | instid1(VALU_DEP_4)
	v_add_f32_e32 v103, v113, v103
	v_dual_add_f32 v113, v118, v186 :: v_dual_add_f32 v82, v112, v100
	v_add_f32_e32 v112, v139, v145
	v_add_f32_e32 v100, v102, v101
	v_sub_f32_e32 v101, v169, v129
	s_delay_alu instid0(VALU_DEP_4) | instskip(SKIP_4) | instid1(VALU_DEP_4)
	v_add_f32_e32 v102, v113, v103
	v_dual_add_f32 v103, v120, v191 :: v_dual_sub_f32 v30, v167, v74
	v_add_f32_e32 v31, v32, v6
	v_add_f32_e32 v7, v35, v7
	v_sub_f32_e32 v32, v138, v47
	v_add_f32_e32 v102, v103, v102
	v_dual_add_f32 v103, v119, v181 :: v_dual_add_f32 v100, v101, v100
	v_sub_f32_e32 v101, v155, v128
	v_dual_add_f32 v77, v115, v77 :: v_dual_add_f32 v74, v104, v142
	s_delay_alu instid0(VALU_DEP_2) | instskip(SKIP_2) | instid1(VALU_DEP_4)
	v_dual_add_f32 v100, v101, v100 :: v_dual_add_f32 v101, v103, v102
	v_add_f32_e32 v103, v110, v107
	v_dual_sub_f32 v107, v194, v111 :: v_dual_add_f32 v102, v121, v168
	v_dual_sub_f32 v110, v151, v132 :: v_dual_add_f32 v77, v112, v77
	s_delay_alu instid0(VALU_DEP_2) | instskip(NEXT) | instid1(VALU_DEP_3)
	v_add_f32_e32 v103, v107, v103
	v_add_f32_e32 v101, v102, v101
	v_dual_add_f32 v102, v122, v154 :: v_dual_sub_f32 v107, v215, v109
	v_dual_add_f32 v109, v89, v5 :: v_dual_add_f32 v96, v96, v202
	s_delay_alu instid0(VALU_DEP_2) | instskip(NEXT) | instid1(VALU_DEP_3)
	v_add_f32_e32 v89, v102, v101
	v_dual_add_f32 v101, v107, v103 :: v_dual_sub_f32 v102, v182, v105
	s_delay_alu instid0(VALU_DEP_3) | instskip(NEXT) | instid1(VALU_DEP_2)
	v_add_f32_e32 v96, v96, v109
	v_dual_sub_f32 v78, v201, v78 :: v_dual_add_f32 v101, v102, v101
	v_dual_sub_f32 v102, v170, v106 :: v_dual_add_f32 v53, v53, v4
	s_delay_alu instid0(VALU_DEP_3) | instskip(NEXT) | instid1(VALU_DEP_2)
	v_add_f32_e32 v87, v87, v96
	v_dual_add_f32 v53, v78, v53 :: v_dual_sub_f32 v78, v211, v84
	s_delay_alu instid0(VALU_DEP_3) | instskip(NEXT) | instid1(VALU_DEP_3)
	v_add_f32_e32 v84, v102, v101
	v_dual_sub_f32 v96, v98, v108 :: v_dual_add_f32 v87, v88, v87
	v_add_f32_e32 v88, v90, v178
	s_delay_alu instid0(VALU_DEP_4) | instskip(SKIP_1) | instid1(VALU_DEP_4)
	v_add_f32_e32 v53, v78, v53
	v_dual_sub_f32 v78, v188, v85 :: v_dual_sub_f32 v85, v195, v114
	v_add_f32_e32 v84, v96, v84
	s_delay_alu instid0(VALU_DEP_4) | instskip(NEXT) | instid1(VALU_DEP_3)
	v_add_f32_e32 v87, v88, v87
	v_dual_add_f32 v88, v97, v175 :: v_dual_add_f32 v53, v78, v53
	v_sub_f32_e32 v78, v183, v86
	s_delay_alu instid0(VALU_DEP_2) | instskip(NEXT) | instid1(VALU_DEP_2)
	v_add_f32_e32 v86, v88, v87
	v_dual_add_f32 v88, v85, v84 :: v_dual_add_f32 v53, v78, v53
	v_dual_sub_f32 v28, v173, v73 :: v_dual_add_f32 v73, v99, v143
	s_delay_alu instid0(VALU_DEP_3) | instskip(NEXT) | instid1(VALU_DEP_2)
	v_dual_add_f32 v29, v76, v86 :: v_dual_add_f32 v76, v110, v100
	v_add_f32_e32 v28, v28, v53
	s_delay_alu instid0(VALU_DEP_2) | instskip(NEXT) | instid1(VALU_DEP_2)
	v_dual_add_f32 v6, v73, v29 :: v_dual_add_f32 v29, v48, v140
	v_add_f32_e32 v28, v30, v28
	v_dual_add_f32 v30, v34, v31 :: v_dual_sub_f32 v31, v184, v81
	s_delay_alu instid0(VALU_DEP_3) | instskip(SKIP_1) | instid1(VALU_DEP_3)
	v_add_f32_e32 v5, v29, v5
	v_add_f32_e32 v7, v25, v7
	v_dual_add_f32 v25, v50, v80 :: v_dual_add_f32 v24, v24, v30
	v_dual_sub_f32 v29, v79, v49 :: v_dual_add_f32 v4, v32, v4
	s_delay_alu instid0(VALU_DEP_3) | instskip(NEXT) | instid1(VALU_DEP_3)
	v_add_f32_e32 v7, v27, v7
	v_dual_add_f32 v5, v25, v5 :: v_dual_add_f32 v24, v26, v24
	v_add_f32_e32 v25, v52, v200
	s_delay_alu instid0(VALU_DEP_4) | instskip(NEXT) | instid1(VALU_DEP_4)
	v_add_f32_e32 v4, v29, v4
	v_add_f32_e32 v7, v21, v7
	s_delay_alu instid0(VALU_DEP_4) | instskip(NEXT) | instid1(VALU_DEP_4)
	v_dual_sub_f32 v21, v210, v51 :: v_dual_add_f32 v20, v20, v24
	v_dual_add_f32 v24, v55, v190 :: v_dual_add_f32 v5, v25, v5
	s_delay_alu instid0(VALU_DEP_2) | instskip(NEXT) | instid1(VALU_DEP_3)
	v_dual_add_f32 v7, v23, v7 :: v_dual_add_f32 v4, v21, v4
	v_dual_add_f32 v20, v22, v20 :: v_dual_sub_f32 v21, v192, v54
	s_delay_alu instid0(VALU_DEP_1) | instskip(NEXT) | instid1(VALU_DEP_4)
	v_dual_add_f32 v7, v17, v7 :: v_dual_add_f32 v16, v16, v20
	v_dual_sub_f32 v20, v177, v56 :: v_dual_add_f32 v5, v24, v5
	s_delay_alu instid0(VALU_DEP_2) | instskip(NEXT) | instid1(VALU_DEP_3)
	v_dual_add_f32 v4, v21, v4 :: v_dual_add_f32 v7, v19, v7
	v_add_f32_e32 v16, v18, v16
	s_delay_alu instid0(VALU_DEP_2) | instskip(NEXT) | instid1(VALU_DEP_2)
	v_dual_add_f32 v4, v20, v4 :: v_dual_add_f32 v7, v9, v7
	v_dual_add_f32 v8, v8, v16 :: v_dual_sub_f32 v9, v187, v58
	v_add_f32_e32 v16, v68, v196
	s_delay_alu instid0(VALU_DEP_2) | instskip(SKIP_3) | instid1(VALU_DEP_4)
	v_add_f32_e32 v8, v10, v8
	v_add_f32_e32 v10, v70, v156
	;; [unrolled: 1-line block ×3, first 2 shown]
	v_dual_add_f32 v7, v11, v7 :: v_dual_add_f32 v4, v9, v4
	v_dual_sub_f32 v9, v166, v67 :: v_dual_add_f32 v8, v12, v8
	s_delay_alu instid0(VALU_DEP_3) | instskip(SKIP_1) | instid1(VALU_DEP_4)
	v_add_f32_e32 v5, v17, v5
	v_add_f32_e32 v17, v59, v197
	v_add_f32_e32 v7, v13, v7
	s_delay_alu instid0(VALU_DEP_4) | instskip(SKIP_1) | instid1(VALU_DEP_4)
	v_add_f32_e32 v4, v9, v4
	v_dual_add_f32 v12, v14, v8 :: v_dual_sub_f32 v9, v207, v69
	v_add_f32_e32 v5, v17, v5
	s_delay_alu instid0(VALU_DEP_4) | instskip(SKIP_1) | instid1(VALU_DEP_4)
	v_add_f32_e32 v11, v15, v7
	v_and_b32_e32 v13, 0xffff, v95
	v_add_f32_e32 v7, v9, v4
	s_delay_alu instid0(VALU_DEP_4) | instskip(SKIP_1) | instid1(VALU_DEP_4)
	v_add_f32_e32 v5, v16, v5
	v_add_f32_e32 v9, v44, v12
	v_add_lshl_u32 v4, v46, v13, 3
	s_delay_alu instid0(VALU_DEP_3)
	v_add_f32_e32 v8, v10, v5
	v_dual_add_f32 v10, v45, v11 :: v_dual_add_f32 v5, v31, v28
	ds_store_2addr_b64 v4, v[9:10], v[7:8] offset1:1
	ds_store_2addr_b64 v4, v[5:6], v[88:89] offset0:2 offset1:3
	ds_store_2addr_b64 v4, v[76:77], v[82:83] offset0:4 offset1:5
	;; [unrolled: 1-line block ×7, first 2 shown]
	ds_store_b64 v4, v[2:3] offset:128
.LBB0_7:
	s_wait_alu 0xfffe
	s_or_b32 exec_lo, exec_lo, s4
	v_add_lshl_u32 v96, v46, v93, 3
	global_wb scope:SCOPE_SE
	s_wait_dscnt 0x0
	s_barrier_signal -1
	s_barrier_wait -1
	global_inv scope:SCOPE_SE
	v_add_nc_u32_e32 v4, 0x800, v96
	v_add_nc_u32_e32 v5, 0x1000, v96
	s_load_b64 s[8:9], s[0:1], 0x8
	ds_load_2addr_b64 v[12:15], v96 offset1:68
	ds_load_2addr_b64 v[28:31], v96 offset0:187 offset1:255
	ds_load_2addr_b64 v[24:27], v4 offset0:118 offset1:186
	;; [unrolled: 1-line block ×3, first 2 shown]
	v_cmp_gt_u16_e64 s0, 51, v93
	s_delay_alu instid0(VALU_DEP_1)
	s_and_saveexec_b32 s1, s0
	s_cbranch_execz .LBB0_9
; %bb.8:
	v_add_nc_u32_e32 v4, 0x400, v96
	v_add_nc_u32_e32 v5, 0xe00, v96
	ds_load_2addr_b64 v[40:43], v4 offset0:8 offset1:195
	ds_load_2addr_b64 v[36:39], v5 offset0:62 offset1:249
.LBB0_9:
	s_wait_alu 0xfffe
	s_or_b32 exec_lo, exec_lo, s1
	v_and_b32_e32 v4, 0xff, v93
	v_add_nc_u16 v6, v93, 0x44
	v_add_nc_u16 v7, v93, 0x88
	s_delay_alu instid0(VALU_DEP_3) | instskip(NEXT) | instid1(VALU_DEP_1)
	v_mul_lo_u16 v4, 0xf1, v4
	v_lshrrev_b16 v34, 12, v4
	s_delay_alu instid0(VALU_DEP_4) | instskip(NEXT) | instid1(VALU_DEP_2)
	v_and_b32_e32 v4, 0xff, v6
	v_mul_lo_u16 v5, v34, 17
	s_delay_alu instid0(VALU_DEP_2) | instskip(NEXT) | instid1(VALU_DEP_2)
	v_mul_lo_u16 v4, 0xf1, v4
	v_sub_nc_u16 v5, v93, v5
	s_delay_alu instid0(VALU_DEP_2) | instskip(NEXT) | instid1(VALU_DEP_2)
	v_lshrrev_b16 v35, 12, v4
	v_and_b32_e32 v44, 0xff, v5
	s_wait_kmcnt 0x0
	s_delay_alu instid0(VALU_DEP_1) | instskip(SKIP_4) | instid1(VALU_DEP_1)
	v_mad_co_u64_u32 v[4:5], null, v44, 24, s[8:9]
	s_clause 0x1
	global_load_b128 v[20:23], v[4:5], off
	global_load_b64 v[71:72], v[4:5], off offset:16
	v_and_b32_e32 v8, 0xff, v7
	v_mul_lo_u16 v8, 0xf1, v8
	s_delay_alu instid0(VALU_DEP_1) | instskip(SKIP_1) | instid1(VALU_DEP_2)
	v_lshrrev_b16 v45, 12, v8
	v_mul_lo_u16 v8, v35, 17
	v_mul_lo_u16 v9, v45, 17
	s_delay_alu instid0(VALU_DEP_2) | instskip(SKIP_1) | instid1(VALU_DEP_3)
	v_sub_nc_u16 v6, v6, v8
	v_and_b32_e32 v99, 0xffff, v45
	v_sub_nc_u16 v7, v7, v9
	s_delay_alu instid0(VALU_DEP_3) | instskip(NEXT) | instid1(VALU_DEP_2)
	v_and_b32_e32 v47, 0xff, v6
	v_and_b32_e32 v98, 0xff, v7
	s_delay_alu instid0(VALU_DEP_2) | instskip(NEXT) | instid1(VALU_DEP_2)
	v_mad_co_u64_u32 v[4:5], null, v47, 24, s[8:9]
	v_mad_co_u64_u32 v[32:33], null, v98, 24, s[8:9]
	s_clause 0x3
	global_load_b128 v[8:11], v[4:5], off
	global_load_b64 v[69:70], v[4:5], off offset:16
	global_load_b128 v[4:7], v[32:33], off
	global_load_b64 v[67:68], v[32:33], off offset:16
	v_and_b32_e32 v33, 0xffff, v35
	s_load_b128 s[4:7], s[2:3], 0x0
	global_wb scope:SCOPE_SE
	s_wait_loadcnt_dscnt 0x0
	s_wait_kmcnt 0x0
	s_barrier_signal -1
	s_barrier_wait -1
	v_mul_u32_u24_e32 v33, 0x44, v33
	global_inv scope:SCOPE_SE
	v_add_nc_u32_e32 v33, v33, v47
	s_delay_alu instid0(VALU_DEP_1) | instskip(SKIP_4) | instid1(VALU_DEP_4)
	v_add_lshl_u32 v100, v46, v33, 3
	v_mul_f32_e32 v33, v28, v21
	v_dual_mul_f32 v45, v16, v72 :: v_dual_and_b32 v32, 0xffff, v34
	v_mul_f32_e32 v34, v25, v23
	v_mul_f32_e32 v35, v24, v23
	v_fmac_f32_e32 v33, v29, v20
	s_delay_alu instid0(VALU_DEP_4) | instskip(SKIP_2) | instid1(VALU_DEP_2)
	v_fmac_f32_e32 v45, v17, v71
	v_mul_u32_u24_e32 v32, 0x44, v32
	v_fma_f32 v24, v24, v22, -v34
	v_dual_fmac_f32 v35, v25, v22 :: v_dual_add_nc_u32 v32, v32, v44
	v_mul_f32_e32 v44, v17, v72
	s_delay_alu instid0(VALU_DEP_1) | instskip(SKIP_1) | instid1(VALU_DEP_4)
	v_fma_f32 v25, v16, v71, -v44
	v_mul_f32_e32 v17, v31, v9
	v_add_lshl_u32 v101, v46, v32, 3
	v_dual_mul_f32 v32, v29, v21 :: v_dual_mul_f32 v29, v27, v11
	v_mul_f32_e32 v16, v42, v5
	v_dual_mul_f32 v34, v26, v11 :: v_dual_mul_f32 v51, v39, v68
	s_delay_alu instid0(VALU_DEP_3)
	v_fma_f32 v28, v28, v20, -v32
	v_mul_f32_e32 v32, v30, v9
	v_dual_mul_f32 v47, v18, v70 :: v_dual_mul_f32 v48, v43, v5
	v_mul_f32_e32 v50, v36, v7
	v_dual_mul_f32 v44, v19, v70 :: v_dual_mul_f32 v49, v37, v7
	v_mul_f32_e32 v52, v38, v68
	v_dual_fmac_f32 v32, v31, v8 :: v_dual_sub_f32 v25, v28, v25
	v_fma_f32 v26, v26, v10, -v29
	v_dual_fmac_f32 v34, v27, v10 :: v_dual_sub_f32 v29, v12, v24
	v_fmac_f32_e32 v47, v19, v69
	v_sub_f32_e32 v31, v13, v35
	v_fmac_f32_e32 v50, v37, v6
	v_sub_f32_e32 v24, v33, v45
	v_fma_f32 v30, v30, v8, -v17
	v_fma_f32 v18, v18, v69, -v44
	;; [unrolled: 1-line block ×3, first 2 shown]
	v_dual_fmac_f32 v16, v43, v4 :: v_dual_sub_f32 v37, v14, v26
	v_fma_f32 v19, v36, v6, -v49
	v_fma_f32 v27, v38, v67, -v51
	v_fma_f32 v36, v13, 2.0, -v31
	v_fma_f32 v28, v28, 2.0, -v25
	v_add_f32_e32 v25, v31, v25
	v_dual_fmac_f32 v52, v39, v67 :: v_dual_sub_f32 v13, v41, v50
	v_dual_sub_f32 v38, v15, v34 :: v_dual_sub_f32 v39, v32, v47
	v_fma_f32 v33, v33, 2.0, -v24
	v_fma_f32 v35, v12, 2.0, -v29
	v_sub_f32_e32 v24, v29, v24
	v_sub_f32_e32 v12, v40, v19
	;; [unrolled: 1-line block ×3, first 2 shown]
	v_fma_f32 v43, v15, 2.0, -v38
	v_sub_f32_e32 v34, v30, v18
	v_dual_sub_f32 v18, v17, v27 :: v_dual_sub_f32 v27, v36, v33
	v_fma_f32 v33, v32, 2.0, -v39
	v_sub_f32_e32 v26, v35, v28
	v_fma_f32 v28, v29, 2.0, -v24
	v_fma_f32 v29, v31, 2.0, -v25
	;; [unrolled: 1-line block ×3, first 2 shown]
	v_sub_f32_e32 v33, v43, v33
	v_fma_f32 v31, v30, 2.0, -v34
	v_dual_sub_f32 v14, v37, v39 :: v_dual_add_f32 v15, v38, v34
	s_delay_alu instid0(VALU_DEP_3) | instskip(NEXT) | instid1(VALU_DEP_3)
	v_fma_f32 v39, v43, 2.0, -v33
	v_sub_f32_e32 v32, v42, v31
	v_fma_f32 v31, v36, 2.0, -v27
	s_delay_alu instid0(VALU_DEP_4)
	v_fma_f32 v34, v37, 2.0, -v14
	v_dual_add_f32 v37, v13, v18 :: v_dual_sub_f32 v36, v12, v19
	v_fma_f32 v30, v35, 2.0, -v26
	v_fma_f32 v35, v38, 2.0, -v15
	;; [unrolled: 1-line block ×3, first 2 shown]
	ds_store_2addr_b64 v101, v[26:27], v[24:25] offset0:34 offset1:51
	ds_store_2addr_b64 v101, v[30:31], v[28:29] offset1:17
	ds_store_2addr_b64 v100, v[38:39], v[34:35] offset1:17
	ds_store_2addr_b64 v100, v[32:33], v[14:15] offset0:34 offset1:51
	s_and_saveexec_b32 s1, s0
	s_cbranch_execz .LBB0_11
; %bb.10:
	v_fma_f32 v24, v41, 2.0, -v13
	v_fma_f32 v14, v16, 2.0, -v19
	;; [unrolled: 1-line block ×4, first 2 shown]
	v_mul_u32_u24_e32 v18, 0x44, v99
	v_fma_f32 v13, v13, 2.0, -v37
	v_sub_f32_e32 v15, v24, v14
	v_fma_f32 v12, v12, 2.0, -v36
	v_sub_f32_e32 v14, v16, v17
	v_add_nc_u32_e32 v18, v18, v98
	s_delay_alu instid0(VALU_DEP_4) | instskip(NEXT) | instid1(VALU_DEP_3)
	v_fma_f32 v17, v24, 2.0, -v15
	v_fma_f32 v16, v16, 2.0, -v14
	s_delay_alu instid0(VALU_DEP_3)
	v_add_lshl_u32 v18, v46, v18, 3
	ds_store_2addr_b64 v18, v[16:17], v[12:13] offset1:17
	ds_store_2addr_b64 v18, v[14:15], v[36:37] offset0:34 offset1:51
.LBB0_11:
	s_wait_alu 0xfffe
	s_or_b32 exec_lo, exec_lo, s1
	v_mad_co_u64_u32 v[24:25], null, 0x50, v93, s[8:9]
	global_wb scope:SCOPE_SE
	s_wait_dscnt 0x0
	s_barrier_signal -1
	s_barrier_wait -1
	global_inv scope:SCOPE_SE
	v_lshl_add_u32 v97, v93, 3, v94
	s_clause 0x4
	global_load_b128 v[32:35], v[24:25], off offset:408
	global_load_b128 v[28:31], v[24:25], off offset:424
	;; [unrolled: 1-line block ×5, first 2 shown]
	ds_load_2addr_b64 v[38:41], v96 offset1:68
	s_wait_loadcnt_dscnt 0x400
	v_dual_mul_f32 v73, v41, v33 :: v_dual_add_nc_u32 v50, 0x800, v96
	ds_load_2addr_b64 v[42:45], v96 offset0:136 offset1:204
	ds_load_2addr_b64 v[46:49], v50 offset0:16 offset1:84
	v_add_nc_u32_e32 v54, 0x1000, v96
	ds_load_2addr_b64 v[50:53], v50 offset0:152 offset1:220
	v_add_nc_u32_e32 v77, 0xc00, v97
	v_add_nc_u32_e32 v75, 0x400, v97
	;; [unrolled: 1-line block ×3, first 2 shown]
	s_wait_dscnt 0x2
	v_dual_mul_f32 v79, v43, v35 :: v_dual_add_nc_u32 v78, 0x1000, v97
	ds_load_2addr_b64 v[54:57], v54 offset0:32 offset1:100
	ds_load_b64 v[58:59], v96 offset:5440
	v_mul_f32_e32 v74, v40, v33
	s_wait_loadcnt_dscnt 0x202
	v_dual_mul_f32 v81, v45, v29 :: v_dual_mul_f32 v88, v50, v19
	v_dual_mul_f32 v84, v46, v31 :: v_dual_mul_f32 v85, v49, v17
	v_mul_f32_e32 v80, v42, v35
	v_dual_mul_f32 v82, v44, v29 :: v_dual_mul_f32 v83, v47, v31
	v_mul_f32_e32 v87, v51, v19
	s_wait_loadcnt 0x1
	v_mul_f32_e32 v89, v53, v13
	v_fma_f32 v40, v40, v32, -v73
	s_wait_dscnt 0x1
	v_mul_f32_e32 v102, v55, v15
	s_wait_loadcnt_dscnt 0x0
	v_mul_f32_e32 v106, v59, v27
	v_dual_mul_f32 v103, v54, v15 :: v_dual_mul_f32 v86, v48, v17
	v_dual_mul_f32 v105, v56, v25 :: v_dual_fmac_f32 v74, v41, v32
	v_dual_mul_f32 v104, v57, v25 :: v_dual_mul_f32 v107, v58, v27
	v_mul_f32_e32 v90, v52, v13
	v_fma_f32 v41, v42, v34, -v79
	v_fma_f32 v42, v44, v28, -v81
	v_fmac_f32_e32 v88, v51, v18
	v_dual_fmac_f32 v103, v55, v14 :: v_dual_fmac_f32 v86, v49, v16
	v_add_f32_e32 v49, v39, v74
	v_fma_f32 v51, v56, v24, -v104
	v_fmac_f32_e32 v84, v47, v30
	v_fma_f32 v47, v54, v14, -v102
	v_dual_fmac_f32 v82, v45, v28 :: v_dual_fmac_f32 v107, v59, v26
	v_dual_fmac_f32 v80, v43, v34 :: v_dual_fmac_f32 v105, v57, v24
	s_delay_alu instid0(VALU_DEP_3) | instskip(NEXT) | instid1(VALU_DEP_3)
	v_dual_add_f32 v59, v42, v47 :: v_dual_fmac_f32 v90, v53, v12
	v_sub_f32_e32 v79, v82, v103
	v_fma_f32 v53, v58, v26, -v106
	v_fma_f32 v43, v46, v30, -v83
	;; [unrolled: 1-line block ×5, first 2 shown]
	v_add_f32_e32 v48, v38, v40
	v_dual_add_f32 v50, v40, v53 :: v_dual_add_f32 v55, v41, v51
	v_dual_sub_f32 v54, v74, v107 :: v_dual_sub_f32 v87, v84, v90
	v_sub_f32_e32 v40, v40, v53
	v_dual_add_f32 v52, v74, v107 :: v_dual_add_f32 v83, v84, v90
	v_sub_f32_e32 v57, v41, v51
	v_add_f32_e32 v73, v82, v103
	v_dual_sub_f32 v74, v42, v47 :: v_dual_add_f32 v89, v44, v45
	v_dual_add_f32 v81, v43, v46 :: v_dual_add_f32 v102, v86, v88
	v_dual_add_f32 v41, v48, v41 :: v_dual_add_f32 v48, v49, v80
	v_mul_f32_e32 v117, 0xbf4178ce, v57
	v_dual_mul_f32 v49, 0xbf0a6770, v54 :: v_dual_add_f32 v56, v80, v105
	v_dual_mul_f32 v109, 0xbf68dda4, v40 :: v_dual_sub_f32 v58, v80, v105
	v_dual_mul_f32 v111, 0xbf7d64f0, v40 :: v_dual_sub_f32 v104, v44, v45
	v_mul_f32_e32 v113, 0xbf4178ce, v40
	v_dual_mul_f32 v80, 0xbf0a6770, v40 :: v_dual_mul_f32 v129, 0xbf0a6770, v74
	v_dual_sub_f32 v85, v43, v46 :: v_dual_sub_f32 v106, v86, v88
	v_mul_f32_e32 v115, 0xbf68dda4, v57
	v_mul_f32_e32 v112, 0xbf4178ce, v54
	v_dual_mul_f32 v40, 0xbe903f40, v40 :: v_dual_add_f32 v41, v41, v42
	v_mul_f32_e32 v108, 0xbf68dda4, v54
	v_dual_mul_f32 v145, 0x3f68dda4, v104 :: v_dual_add_f32 v42, v48, v82
	v_fma_f32 v48, 0x3f575c64, v50, -v49
	v_mul_f32_e32 v110, 0xbf7d64f0, v54
	v_dual_fmamk_f32 v82, v52, 0x3f575c64, v80 :: v_dual_fmac_f32 v49, 0x3f575c64, v50
	v_dual_mul_f32 v54, 0xbe903f40, v54 :: v_dual_mul_f32 v137, 0xbe903f40, v85
	v_mul_f32_e32 v114, 0xbf68dda4, v58
	v_dual_mul_f32 v116, 0xbf4178ce, v58 :: v_dual_mul_f32 v131, 0xbf4178ce, v85
	v_dual_mul_f32 v118, 0x3e903f40, v58 :: v_dual_mul_f32 v119, 0x3e903f40, v57
	;; [unrolled: 1-line block ×9, first 2 shown]
	v_mul_f32_e32 v143, 0xbf4178ce, v104
	v_dual_mul_f32 v132, 0x3f7d64f0, v87 :: v_dual_mul_f32 v133, 0x3f7d64f0, v85
	v_dual_mul_f32 v136, 0xbe903f40, v87 :: v_dual_mul_f32 v139, 0xbe903f40, v104
	v_dual_mul_f32 v85, 0x3f68dda4, v85 :: v_dual_add_f32 v42, v42, v84
	v_dual_mul_f32 v140, 0x3f0a6770, v106 :: v_dual_mul_f32 v141, 0x3f0a6770, v104
	v_mul_f32_e32 v144, 0x3f68dda4, v106
	v_mul_f32_e32 v104, 0xbf7d64f0, v104
	v_fma_f32 v80, 0x3f575c64, v52, -v80
	v_fma_f32 v150, 0xbf27a4f4, v50, -v112
	v_dual_fmamk_f32 v151, v52, 0xbf27a4f4, v113 :: v_dual_fmac_f32 v112, 0xbf27a4f4, v50
	v_mul_f32_e32 v142, 0xbf4178ce, v106
	v_fma_f32 v113, 0xbf27a4f4, v52, -v113
	v_mul_f32_e32 v134, 0xbf0a6770, v87
	v_fmamk_f32 v153, v52, 0xbf75a155, v40
	v_fma_f32 v40, 0xbf75a155, v52, -v40
	v_add_f32_e32 v41, v41, v43
	v_fma_f32 v146, 0x3ed4b147, v50, -v108
	v_dual_fmamk_f32 v147, v52, 0x3ed4b147, v109 :: v_dual_fmac_f32 v108, 0x3ed4b147, v50
	v_fma_f32 v109, 0x3ed4b147, v52, -v109
	v_add_f32_e32 v43, v38, v48
	v_fma_f32 v148, 0xbe11bafb, v50, -v110
	v_dual_fmamk_f32 v149, v52, 0xbe11bafb, v111 :: v_dual_fmac_f32 v110, 0xbe11bafb, v50
	v_mul_f32_e32 v130, 0xbf4178ce, v87
	v_mul_f32_e32 v87, 0x3f68dda4, v87
	v_fma_f32 v111, 0xbe11bafb, v52, -v111
	v_mul_f32_e32 v138, 0xbe903f40, v106
	v_add_f32_e32 v48, v39, v82
	v_mul_f32_e32 v106, 0xbf7d64f0, v106
	v_fma_f32 v152, 0xbf75a155, v50, -v54
	v_dual_fmac_f32 v54, 0xbf75a155, v50 :: v_dual_fmamk_f32 v157, v56, 0xbf75a155, v119
	v_fmamk_f32 v52, v56, 0x3ed4b147, v115
	v_fma_f32 v115, 0x3ed4b147, v56, -v115
	v_fma_f32 v154, 0xbf27a4f4, v55, -v116
	v_dual_fmamk_f32 v155, v56, 0xbf27a4f4, v117 :: v_dual_fmac_f32 v116, 0xbf27a4f4, v55
	v_fma_f32 v117, 0xbf27a4f4, v56, -v117
	v_fma_f32 v156, 0xbf75a155, v55, -v118
	v_dual_fmac_f32 v118, 0xbf75a155, v55 :: v_dual_fmamk_f32 v163, v73, 0xbf75a155, v125
	v_fma_f32 v119, 0xbf75a155, v56, -v119
	v_fma_f32 v158, 0xbe11bafb, v55, -v120
	v_dual_fmamk_f32 v159, v56, 0xbe11bafb, v121 :: v_dual_fmac_f32 v120, 0xbe11bafb, v55
	v_fma_f32 v121, 0xbe11bafb, v56, -v121
	v_fma_f32 v160, 0x3f575c64, v55, -v58
	v_dual_fmamk_f32 v161, v56, 0x3f575c64, v57 :: v_dual_fmac_f32 v58, 0x3f575c64, v55
	v_fma_f32 v162, 0xbf75a155, v59, -v124
	v_dual_fmac_f32 v124, 0xbf75a155, v59 :: v_dual_fmamk_f32 v175, v83, 0xbf75a155, v137
	v_fma_f32 v125, 0xbf75a155, v73, -v125
	v_fma_f32 v164, 0x3ed4b147, v59, -v126
	v_dual_fmamk_f32 v165, v73, 0x3ed4b147, v127 :: v_dual_fmac_f32 v126, 0x3ed4b147, v59
	v_fmamk_f32 v177, v83, 0x3ed4b147, v85
	v_fma_f32 v127, 0x3ed4b147, v73, -v127
	v_fma_f32 v166, 0x3f575c64, v59, -v128
	v_dual_fmamk_f32 v167, v73, 0x3f575c64, v129 :: v_dual_fmac_f32 v128, 0x3f575c64, v59
	v_fma_f32 v129, 0x3f575c64, v73, -v129
	v_fma_f32 v168, 0xbf27a4f4, v59, -v79
	v_fmamk_f32 v169, v73, 0xbf27a4f4, v74
	v_fmac_f32_e32 v79, 0xbf27a4f4, v59
	v_fma_f32 v170, 0xbe11bafb, v81, -v132
	v_dual_fmamk_f32 v171, v83, 0xbe11bafb, v133 :: v_dual_fmac_f32 v132, 0xbe11bafb, v81
	v_fma_f32 v133, 0xbe11bafb, v83, -v133
	v_fma_f32 v174, 0xbf75a155, v81, -v136
	v_fmac_f32_e32 v136, 0xbf75a155, v81
	v_fma_f32 v137, 0xbf75a155, v83, -v137
	v_fma_f32 v176, 0x3ed4b147, v81, -v87
	v_dual_fmac_f32 v87, 0x3ed4b147, v81 :: v_dual_add_f32 v80, v39, v80
	v_fma_f32 v178, 0x3f575c64, v89, -v140
	v_dual_fmamk_f32 v179, v102, 0x3f575c64, v141 :: v_dual_fmac_f32 v140, 0x3f575c64, v89
	v_fma_f32 v182, 0x3ed4b147, v89, -v144
	v_dual_fmamk_f32 v183, v102, 0x3ed4b147, v145 :: v_dual_fmac_f32 v144, 0x3ed4b147, v89
	v_fma_f32 v184, 0xbe11bafb, v89, -v106
	v_dual_fmamk_f32 v185, v102, 0xbe11bafb, v104 :: v_dual_add_f32 v84, v39, v147
	v_add_f32_e32 v49, v38, v49
	v_fma_f32 v50, 0x3ed4b147, v55, -v114
	v_fmac_f32_e32 v114, 0x3ed4b147, v55
	v_fma_f32 v55, 0x3f575c64, v56, -v57
	v_fma_f32 v56, 0xbe11bafb, v59, -v122
	v_dual_fmamk_f32 v57, v73, 0xbe11bafb, v123 :: v_dual_fmac_f32 v122, 0xbe11bafb, v59
	v_fma_f32 v123, 0xbe11bafb, v73, -v123
	v_fma_f32 v59, 0xbf27a4f4, v73, -v74
	v_fma_f32 v73, 0xbf27a4f4, v81, -v130
	v_fmamk_f32 v74, v83, 0xbf27a4f4, v131
	v_fmac_f32_e32 v130, 0xbf27a4f4, v81
	v_fma_f32 v131, 0xbf27a4f4, v83, -v131
	v_add_f32_e32 v111, v39, v111
	v_add_f32_e32 v147, v39, v151
	v_fma_f32 v180, 0xbf27a4f4, v89, -v142
	v_dual_fmamk_f32 v181, v102, 0xbf27a4f4, v143 :: v_dual_fmac_f32 v142, 0xbf27a4f4, v89
	v_add_f32_e32 v113, v39, v113
	v_fma_f32 v172, 0x3f575c64, v81, -v134
	v_dual_fmamk_f32 v173, v83, 0x3f575c64, v135 :: v_dual_fmac_f32 v134, 0x3f575c64, v81
	v_fma_f32 v135, 0x3f575c64, v83, -v135
	v_fma_f32 v81, 0x3ed4b147, v83, -v85
	;; [unrolled: 1-line block ×3, first 2 shown]
	v_fmac_f32_e32 v138, 0xbf75a155, v89
	v_add_f32_e32 v82, v38, v146
	v_fmac_f32_e32 v106, 0xbe11bafb, v89
	v_fma_f32 v89, 0xbe11bafb, v102, -v104
	v_add_f32_e32 v104, v39, v109
	v_add_f32_e32 v109, v39, v149
	;; [unrolled: 1-line block ×4, first 2 shown]
	v_dual_add_f32 v40, v41, v44 :: v_dual_add_f32 v41, v42, v86
	v_fmamk_f32 v85, v102, 0xbf75a155, v139
	v_fma_f32 v139, 0xbf75a155, v102, -v139
	v_fma_f32 v141, 0x3f575c64, v102, -v141
	;; [unrolled: 1-line block ×3, first 2 shown]
	v_dual_add_f32 v41, v41, v88 :: v_dual_add_f32 v42, v50, v43
	v_dual_add_f32 v43, v52, v48 :: v_dual_add_f32 v110, v38, v110
	v_fma_f32 v145, 0x3ed4b147, v102, -v145
	v_add_f32_e32 v102, v38, v108
	v_dual_add_f32 v108, v38, v148 :: v_dual_add_f32 v39, v55, v39
	s_delay_alu instid0(VALU_DEP_4) | instskip(SKIP_3) | instid1(VALU_DEP_4)
	v_dual_add_f32 v50, v155, v84 :: v_dual_add_f32 v43, v57, v43
	v_add_f32_e32 v84, v118, v110
	v_add_f32_e32 v112, v38, v112
	;; [unrolled: 1-line block ×3, first 2 shown]
	v_dual_add_f32 v48, v115, v80 :: v_dual_add_f32 v43, v74, v43
	v_add_f32_e32 v146, v38, v150
	v_dual_add_f32 v49, v154, v82 :: v_dual_add_f32 v86, v119, v111
	v_add_f32_e32 v39, v59, v39
	v_add_f32_e32 v41, v41, v90
	;; [unrolled: 1-line block ×7, first 2 shown]
	v_dual_add_f32 v57, v127, v86 :: v_dual_add_f32 v40, v40, v45
	v_dual_add_f32 v45, v123, v48 :: v_dual_add_f32 v48, v162, v49
	v_add_f32_e32 v39, v81, v39
	v_add_f32_e32 v49, v163, v50
	s_delay_alu instid0(VALU_DEP_4)
	v_add_f32_e32 v40, v40, v46
	v_add_f32_e32 v54, v117, v104
	;; [unrolled: 1-line block ×5, first 2 shown]
	v_dual_add_f32 v38, v58, v38 :: v_dual_add_f32 v111, v161, v149
	v_dual_add_f32 v52, v116, v102 :: v_dual_add_f32 v45, v131, v45
	;; [unrolled: 1-line block ×3, first 2 shown]
	s_delay_alu instid0(VALU_DEP_4) | instskip(NEXT) | instid1(VALU_DEP_4)
	v_add_f32_e32 v59, v179, v48
	v_add_f32_e32 v38, v79, v38
	v_dual_add_f32 v108, v120, v112 :: v_dual_add_f32 v55, v165, v82
	v_add_f32_e32 v110, v160, v148
	v_dual_add_f32 v42, v73, v42 :: v_dual_add_f32 v73, v135, v57
	s_delay_alu instid0(VALU_DEP_4)
	v_dual_add_f32 v38, v87, v38 :: v_dual_add_f32 v87, v41, v103
	v_add_f32_e32 v57, v85, v43
	v_add_f32_e32 v43, v139, v45
	v_dual_add_f32 v45, v81, v51 :: v_dual_add_f32 v50, v124, v52
	v_add_f32_e32 v52, v125, v54
	v_dual_add_f32 v54, v164, v80 :: v_dual_add_f32 v109, v121, v113
	v_add_f32_e32 v47, v143, v73
	s_delay_alu instid0(VALU_DEP_4) | instskip(NEXT) | instid1(VALU_DEP_4)
	v_add_f32_e32 v73, v45, v53
	v_dual_add_f32 v49, v132, v50 :: v_dual_add_f32 v50, v133, v52
	s_delay_alu instid0(VALU_DEP_4) | instskip(SKIP_4) | instid1(VALU_DEP_4)
	v_add_f32_e32 v52, v172, v54
	v_add_f32_e32 v54, v173, v55
	;; [unrolled: 1-line block ×5, first 2 shown]
	v_dual_add_f32 v40, v140, v49 :: v_dual_add_f32 v49, v181, v54
	s_delay_alu instid0(VALU_DEP_4)
	v_add_f32_e32 v80, v167, v104
	v_add_f32_e32 v58, v166, v102
	;; [unrolled: 1-line block ×9, first 2 shown]
	s_delay_alu instid0(VALU_DEP_4) | instskip(NEXT) | instid1(VALU_DEP_4)
	v_dual_add_f32 v74, v174, v58 :: v_dual_add_f32 v51, v183, v79
	v_add_f32_e32 v44, v130, v44
	v_add_f32_e32 v84, v176, v86
	;; [unrolled: 1-line block ×4, first 2 shown]
	v_dual_add_f32 v55, v134, v56 :: v_dual_add_f32 v56, v83, v42
	v_add_f32_e32 v42, v138, v44
	v_add_f32_e32 v58, v178, v46
	v_dual_add_f32 v41, v141, v50 :: v_dual_add_f32 v48, v180, v52
	s_delay_alu instid0(VALU_DEP_4)
	v_add_f32_e32 v46, v142, v55
	v_add_f32_e32 v50, v182, v74
	;; [unrolled: 1-line block ×4, first 2 shown]
	v_dual_add_f32 v74, v54, v107 :: v_dual_add_f32 v53, v185, v86
	v_dual_add_f32 v54, v106, v38 :: v_dual_add_f32 v55, v89, v39
	ds_store_b64 v97, v[73:74]
	ds_store_2addr_b64 v97, v[56:57], v[58:59] offset0:68 offset1:136
	ds_store_2addr_b64 v75, v[48:49], v[50:51] offset0:76 offset1:144
	;; [unrolled: 1-line block ×5, first 2 shown]
	global_wb scope:SCOPE_SE
	s_wait_dscnt 0x0
	s_barrier_signal -1
	s_barrier_wait -1
	global_inv scope:SCOPE_SE
	s_and_saveexec_b32 s1, vcc_lo
	s_cbranch_execz .LBB0_13
; %bb.12:
	global_load_b64 v[38:39], v92, s[12:13] offset:5984
	s_add_nc_u64 s[2:3], s[12:13], 0x1760
	s_clause 0xf
	global_load_b64 v[122:123], v92, s[2:3] offset:352
	global_load_b64 v[124:125], v92, s[2:3] offset:704
	;; [unrolled: 1-line block ×16, first 2 shown]
	ds_load_b64 v[79:80], v97
	s_wait_loadcnt_dscnt 0x1000
	v_mul_f32_e32 v81, v80, v39
	v_mul_f32_e32 v82, v79, v39
	s_delay_alu instid0(VALU_DEP_2) | instskip(NEXT) | instid1(VALU_DEP_2)
	v_fma_f32 v81, v79, v38, -v81
	v_fmac_f32_e32 v82, v80, v38
	ds_store_b64 v97, v[81:82]
	ds_load_2addr_b64 v[79:82], v97 offset0:44 offset1:88
	ds_load_2addr_b64 v[83:86], v97 offset0:132 offset1:176
	;; [unrolled: 1-line block ×8, first 2 shown]
	s_wait_loadcnt_dscnt 0xf07
	v_mul_f32_e32 v39, v79, v123
	v_mul_f32_e32 v38, v80, v123
	s_wait_loadcnt 0xe
	v_mul_f32_e32 v154, v82, v125
	v_mul_f32_e32 v123, v81, v125
	s_wait_loadcnt_dscnt 0xc06
	v_dual_mul_f32 v155, v84, v127 :: v_dual_mul_f32 v156, v86, v129
	s_wait_loadcnt_dscnt 0xa05
	v_dual_mul_f32 v125, v83, v127 :: v_dual_mul_f32 v158, v90, v133
	v_mul_f32_e32 v127, v85, v129
	s_wait_loadcnt_dscnt 0x804
	v_dual_mul_f32 v157, v88, v131 :: v_dual_mul_f32 v160, v105, v137
	s_wait_loadcnt_dscnt 0x603
	v_dual_mul_f32 v129, v87, v131 :: v_dual_mul_f32 v162, v109, v141
	;; [unrolled: 5-line block ×3, first 2 shown]
	v_mul_f32_e32 v135, v104, v137
	s_wait_loadcnt_dscnt 0x0
	v_dual_mul_f32 v161, v107, v139 :: v_dual_mul_f32 v168, v121, v153
	v_mul_f32_e32 v137, v106, v139
	v_mul_f32_e32 v139, v108, v141
	;; [unrolled: 1-line block ×11, first 2 shown]
	v_fma_f32 v38, v79, v122, -v38
	v_fmac_f32_e32 v39, v80, v122
	v_fma_f32 v122, v81, v124, -v154
	v_fmac_f32_e32 v123, v82, v124
	;; [unrolled: 2-line block ×16, first 2 shown]
	ds_store_2addr_b64 v97, v[38:39], v[122:123] offset0:44 offset1:88
	ds_store_2addr_b64 v97, v[124:125], v[126:127] offset0:132 offset1:176
	;; [unrolled: 1-line block ×8, first 2 shown]
.LBB0_13:
	s_wait_alu 0xfffe
	s_or_b32 exec_lo, exec_lo, s1
	global_wb scope:SCOPE_SE
	s_wait_dscnt 0x0
	s_barrier_signal -1
	s_barrier_wait -1
	global_inv scope:SCOPE_SE
	s_and_saveexec_b32 s1, vcc_lo
	s_cbranch_execz .LBB0_15
; %bb.14:
	v_add_nc_u32_e32 v0, 0xc00, v97
	v_add_nc_u32_e32 v1, 0x1000, v97
	ds_load_2addr_b64 v[36:39], v0 offset0:100 offset1:144
	ds_load_2addr_b64 v[75:78], v1 offset0:60 offset1:104
	v_add_nc_u32_e32 v40, 0x400, v97
	s_wait_dscnt 0x1
	v_dual_mov_b32 v66, v39 :: v_dual_add_nc_u32 v41, 0x800, v97
	s_wait_dscnt 0x0
	v_dual_mov_b32 v64, v76 :: v_dual_mov_b32 v63, v75
	ds_load_2addr_b64 v[0:3], v1 offset0:148 offset1:192
	ds_load_b64 v[73:74], v97
	ds_load_2addr_b64 v[56:59], v97 offset0:44 offset1:88
	ds_load_2addr_b64 v[48:51], v97 offset0:132 offset1:176
	;; [unrolled: 1-line block ×5, first 2 shown]
	v_mov_b32_e32 v65, v38
	v_dual_mov_b32 v61, v77 :: v_dual_mov_b32 v62, v78
.LBB0_15:
	s_wait_alu 0xfffe
	s_or_b32 exec_lo, exec_lo, s1
	s_wait_dscnt 0x4
	v_dual_sub_f32 v118, v57, v3 :: v_dual_add_f32 v121, v3, v57
	v_dual_add_f32 v102, v2, v56 :: v_dual_sub_f32 v103, v56, v2
	s_wait_dscnt 0x3
	v_sub_f32_e32 v122, v51, v64
	s_delay_alu instid0(VALU_DEP_3) | instskip(SKIP_4) | instid1(VALU_DEP_4)
	v_mul_f32_e32 v38, 0xbf4c4adb, v118
	v_mul_f32_e32 v87, 0xbf59a7d5, v121
	;; [unrolled: 1-line block ×5, first 2 shown]
	v_dual_add_f32 v123, v1, v59 :: v_dual_fmamk_f32 v80, v103, 0xbf06c442, v87
	s_delay_alu instid0(VALU_DEP_3) | instskip(SKIP_1) | instid1(VALU_DEP_4)
	v_dual_sub_f32 v105, v58, v0 :: v_dual_fmamk_f32 v82, v103, 0x3e3c28d5, v76
	v_fmac_f32_e32 v76, 0xbe3c28d5, v103
	v_fmamk_f32 v81, v102, 0xbf7ba420, v75
	v_fmamk_f32 v78, v103, 0xbf4c4adb, v39
	s_delay_alu instid0(VALU_DEP_4) | instskip(SKIP_1) | instid1(VALU_DEP_3)
	v_dual_mul_f32 v85, 0xbe8c1d8e, v123 :: v_dual_add_f32 v82, v74, v82
	v_sub_f32_e32 v119, v59, v1
	v_dual_add_f32 v81, v73, v81 :: v_dual_add_f32 v78, v74, v78
	s_delay_alu instid0(VALU_DEP_3)
	v_dual_add_f32 v76, v74, v76 :: v_dual_fmamk_f32 v89, v105, 0x3f763a35, v85
	v_mul_f32_e32 v84, 0xbf06c442, v118
	v_fma_f32 v77, 0xbf1a4643, v102, -v38
	v_fma_f32 v75, 0xbf7ba420, v102, -v75
	v_dual_add_f32 v104, v0, v58 :: v_dual_mul_f32 v83, 0x3f763a35, v119
	v_dual_add_f32 v78, v89, v78 :: v_dual_mul_f32 v107, 0x3f6eb680, v123
	v_mul_f32_e32 v90, 0x3eb8f4ab, v119
	v_fma_f32 v79, 0xbf59a7d5, v102, -v84
	v_add_f32_e32 v77, v73, v77
	v_add_f32_e32 v75, v73, v75
	v_fma_f32 v86, 0xbe8c1d8e, v104, -v83
	v_fmamk_f32 v106, v104, 0x3f6eb680, v90
	v_mul_f32_e32 v88, 0x3f65296c, v119
	v_mul_f32_e32 v134, 0x3ee437d1, v123
	v_dual_add_f32 v79, v73, v79 :: v_dual_add_f32 v80, v74, v80
	s_delay_alu instid0(VALU_DEP_4)
	v_add_f32_e32 v81, v106, v81
	v_add_f32_e32 v77, v86, v77
	v_fma_f32 v86, 0x3ee437d1, v104, -v88
	v_fmamk_f32 v89, v105, 0x3f65296c, v134
	v_dual_sub_f32 v120, v49, v62 :: v_dual_add_f32 v125, v62, v49
	v_add_f32_e32 v127, v64, v51
	s_delay_alu instid0(VALU_DEP_3) | instskip(NEXT) | instid1(VALU_DEP_3)
	v_dual_add_f32 v79, v86, v79 :: v_dual_add_f32 v80, v89, v80
	v_dual_fmamk_f32 v89, v105, 0xbeb8f4ab, v107 :: v_dual_mul_f32 v86, 0xbeb8f4ab, v120
	v_fmac_f32_e32 v107, 0x3eb8f4ab, v105
	v_fma_f32 v90, 0x3f6eb680, v104, -v90
	v_add_f32_e32 v106, v61, v48
	s_delay_alu instid0(VALU_DEP_4) | instskip(NEXT) | instid1(VALU_DEP_4)
	v_dual_add_f32 v82, v89, v82 :: v_dual_mul_f32 v139, 0x3dbcf732, v125
	v_dual_add_f32 v76, v107, v76 :: v_dual_sub_f32 v107, v48, v61
	v_mul_f32_e32 v137, 0xbf7ee86f, v120
	v_add_f32_e32 v75, v90, v75
	v_fma_f32 v89, 0x3f6eb680, v106, -v86
	v_mul_f32_e32 v110, 0xbf59a7d5, v125
	global_wb scope:SCOPE_SE
	s_wait_dscnt 0x0
	v_fma_f32 v109, 0x3dbcf732, v106, -v137
	v_mul_f32_e32 v90, 0x3f6eb680, v125
	v_mul_f32_e32 v135, 0xbf59a7d5, v127
	s_barrier_signal -1
	s_barrier_wait -1
	v_add_f32_e32 v79, v109, v79
	v_dual_add_f32 v77, v89, v77 :: v_dual_fmamk_f32 v108, v107, 0xbeb8f4ab, v90
	v_mul_f32_e32 v89, 0xbf06c442, v120
	v_dual_sub_f32 v109, v50, v63 :: v_dual_mul_f32 v138, 0x3f4c4adb, v122
	s_delay_alu instid0(VALU_DEP_3) | instskip(SKIP_4) | instid1(VALU_DEP_4)
	v_dual_mul_f32 v113, 0x3f3d2fb0, v127 :: v_dual_add_f32 v78, v108, v78
	v_fmamk_f32 v108, v107, 0x3f06c442, v110
	v_fmac_f32_e32 v110, 0xbf06c442, v107
	v_fmamk_f32 v111, v107, 0xbf7ee86f, v139
	v_dual_add_f32 v131, v66, v53 :: v_dual_sub_f32 v124, v53, v66
	v_add_f32_e32 v82, v108, v82
	v_add_f32_e32 v108, v63, v50
	v_fmamk_f32 v112, v106, 0xbf59a7d5, v89
	v_add_f32_e32 v76, v110, v76
	v_add_f32_e32 v80, v111, v80
	v_fma_f32 v111, 0xbf59a7d5, v106, -v89
	v_dual_mul_f32 v89, 0xbf06c442, v122 :: v_dual_fmamk_f32 v110, v109, 0xbf06c442, v135
	v_add_f32_e32 v81, v112, v81
	v_fma_f32 v112, 0xbf1a4643, v108, -v138
	s_delay_alu instid0(VALU_DEP_4) | instskip(NEXT) | instid1(VALU_DEP_4)
	v_add_f32_e32 v75, v111, v75
	v_fma_f32 v111, 0xbf59a7d5, v108, -v89
	v_add_f32_e32 v78, v110, v78
	v_mul_f32_e32 v146, 0x3f6eb680, v131
	v_add_f32_e32 v79, v112, v79
	global_inv scope:SCOPE_SE
	v_add_f32_e32 v77, v111, v77
	v_mul_f32_e32 v111, 0x3f2c7751, v122
	v_add_f32_e32 v129, v37, v55
	v_sub_f32_e32 v128, v45, v43
	v_add_f32_e32 v132, v43, v45
	s_delay_alu instid0(VALU_DEP_4) | instskip(SKIP_1) | instid1(VALU_DEP_4)
	v_fmamk_f32 v114, v108, 0x3f3d2fb0, v111
	v_mul_f32_e32 v142, 0xbf1a4643, v127
	v_mul_f32_e32 v145, 0xbe3c28d5, v128
	;; [unrolled: 1-line block ×3, first 2 shown]
	s_delay_alu instid0(VALU_DEP_3) | instskip(SKIP_1) | instid1(VALU_DEP_2)
	v_dual_add_f32 v81, v114, v81 :: v_dual_fmamk_f32 v110, v109, 0x3f4c4adb, v142
	v_mul_f32_e32 v140, 0x3dbcf732, v131
	v_add_f32_e32 v80, v110, v80
	v_add_f32_e32 v110, v65, v52
	v_fma_f32 v111, 0x3f3d2fb0, v108, -v111
	v_fmamk_f32 v112, v109, 0xbf2c7751, v113
	v_fmac_f32_e32 v113, 0x3f2c7751, v109
	v_mul_f32_e32 v136, 0x3f7ee86f, v124
	v_mul_f32_e32 v143, 0xbeb8f4ab, v124
	s_delay_alu instid0(VALU_DEP_4) | instskip(SKIP_1) | instid1(VALU_DEP_4)
	v_dual_add_f32 v75, v111, v75 :: v_dual_add_f32 v82, v112, v82
	v_sub_f32_e32 v111, v52, v65
	v_fma_f32 v112, 0x3dbcf732, v110, -v136
	s_delay_alu instid0(VALU_DEP_4) | instskip(NEXT) | instid1(VALU_DEP_2)
	v_fma_f32 v115, 0x3f6eb680, v110, -v143
	v_dual_add_f32 v77, v112, v77 :: v_dual_fmamk_f32 v112, v111, 0x3f7ee86f, v140
	v_mul_f32_e32 v114, 0xbf1a4643, v131
	v_add_f32_e32 v76, v113, v76
	v_mul_f32_e32 v113, 0xbf4c4adb, v124
	s_delay_alu instid0(VALU_DEP_4) | instskip(SKIP_1) | instid1(VALU_DEP_3)
	v_dual_add_f32 v79, v115, v79 :: v_dual_add_f32 v78, v112, v78
	v_sub_f32_e32 v126, v55, v37
	v_fmamk_f32 v112, v110, 0xbf1a4643, v113
	v_fma_f32 v115, 0xbf1a4643, v110, -v113
	v_sub_f32_e32 v113, v54, v36
	s_delay_alu instid0(VALU_DEP_4) | instskip(NEXT) | instid1(VALU_DEP_4)
	v_mul_f32_e32 v141, 0xbf2c7751, v126
	v_dual_mul_f32 v148, 0xbe3c28d5, v126 :: v_dual_add_f32 v81, v112, v81
	s_delay_alu instid0(VALU_DEP_4) | instskip(SKIP_1) | instid1(VALU_DEP_1)
	v_dual_add_f32 v112, v36, v54 :: v_dual_add_f32 v75, v115, v75
	v_mul_f32_e32 v115, 0x3f65296c, v126
	v_fmamk_f32 v130, v112, 0x3ee437d1, v115
	s_delay_alu instid0(VALU_DEP_1) | instskip(NEXT) | instid1(VALU_DEP_1)
	v_dual_fmamk_f32 v116, v111, 0xbeb8f4ab, v146 :: v_dual_add_f32 v81, v130, v81
	v_add_f32_e32 v80, v116, v80
	v_fma_f32 v116, 0x3f3d2fb0, v112, -v141
	s_delay_alu instid0(VALU_DEP_1) | instskip(SKIP_3) | instid1(VALU_DEP_3)
	v_add_f32_e32 v77, v116, v77
	v_fmamk_f32 v117, v111, 0x3f4c4adb, v114
	v_fma_f32 v116, 0xbf7ba420, v112, -v148
	v_fmac_f32_e32 v114, 0xbf4c4adb, v111
	v_dual_add_f32 v82, v117, v82 :: v_dual_mul_f32 v117, 0x3ee437d1, v129
	s_delay_alu instid0(VALU_DEP_1) | instskip(NEXT) | instid1(VALU_DEP_1)
	v_dual_add_f32 v79, v116, v79 :: v_dual_fmamk_f32 v116, v113, 0xbf65296c, v117
	v_dual_fmac_f32 v117, 0x3f65296c, v113 :: v_dual_add_f32 v82, v116, v82
	v_fma_f32 v116, 0x3ee437d1, v112, -v115
	v_dual_mul_f32 v144, 0x3f3d2fb0, v129 :: v_dual_sub_f32 v115, v44, v42
	s_delay_alu instid0(VALU_DEP_2) | instskip(NEXT) | instid1(VALU_DEP_2)
	v_dual_add_f32 v76, v114, v76 :: v_dual_add_f32 v75, v116, v75
	v_fmamk_f32 v114, v113, 0xbf2c7751, v144
	s_delay_alu instid0(VALU_DEP_2) | instskip(SKIP_2) | instid1(VALU_DEP_4)
	v_add_f32_e32 v76, v117, v76
	v_mul_f32_e32 v117, 0xbf763a35, v128
	v_dual_mul_f32 v152, 0xbf7ba420, v129 :: v_dual_mul_f32 v147, 0xbf7ba420, v132
	v_dual_add_f32 v78, v114, v78 :: v_dual_mul_f32 v153, 0x3f3d2fb0, v132
	s_delay_alu instid0(VALU_DEP_2) | instskip(NEXT) | instid1(VALU_DEP_3)
	v_fmamk_f32 v114, v113, 0xbe3c28d5, v152
	v_fmamk_f32 v116, v115, 0xbe3c28d5, v147
	v_mul_f32_e32 v155, 0xbe8c1d8e, v132
	s_delay_alu instid0(VALU_DEP_3) | instskip(NEXT) | instid1(VALU_DEP_2)
	v_add_f32_e32 v80, v114, v80
	v_dual_add_f32 v114, v42, v44 :: v_dual_fmamk_f32 v149, v115, 0x3f763a35, v155
	s_delay_alu instid0(VALU_DEP_1) | instskip(NEXT) | instid1(VALU_DEP_1)
	v_fma_f32 v130, 0xbf7ba420, v114, -v145
	v_dual_add_f32 v82, v149, v82 :: v_dual_add_f32 v77, v130, v77
	v_fma_f32 v130, 0x3f3d2fb0, v114, -v151
	s_delay_alu instid0(VALU_DEP_1) | instskip(NEXT) | instid1(VALU_DEP_1)
	v_dual_add_f32 v79, v130, v79 :: v_dual_sub_f32 v130, v47, v41
	v_mul_f32_e32 v149, 0x3f65296c, v130
	v_fmamk_f32 v133, v114, 0xbe8c1d8e, v117
	v_fma_f32 v156, 0xbe8c1d8e, v114, -v117
	v_sub_f32_e32 v117, v46, v40
	s_delay_alu instid0(VALU_DEP_3) | instskip(SKIP_3) | instid1(VALU_DEP_3)
	v_add_f32_e32 v81, v133, v81
	v_dual_add_f32 v133, v41, v47 :: v_dual_add_f32 v78, v116, v78
	v_fmac_f32_e32 v155, 0xbf763a35, v115
	v_fmamk_f32 v116, v115, 0x3f2c7751, v153
	v_dual_add_f32 v156, v156, v75 :: v_dual_mul_f32 v159, 0x3dbcf732, v133
	s_delay_alu instid0(VALU_DEP_3) | instskip(NEXT) | instid1(VALU_DEP_3)
	v_add_f32_e32 v158, v155, v76
	v_dual_add_f32 v80, v116, v80 :: v_dual_mul_f32 v155, 0xbe8c1d8e, v133
	v_add_f32_e32 v116, v40, v46
	v_mul_f32_e32 v154, 0xbf763a35, v130
	v_fmamk_f32 v160, v117, 0xbf7ee86f, v159
	v_fmac_f32_e32 v159, 0x3f7ee86f, v117
	s_delay_alu instid0(VALU_DEP_4) | instskip(NEXT) | instid1(VALU_DEP_1)
	v_fma_f32 v157, 0x3ee437d1, v116, -v149
	v_add_f32_e32 v75, v157, v77
	v_mul_f32_e32 v157, 0x3f7ee86f, v130
	v_mul_f32_e32 v150, 0x3ee437d1, v133
	v_fma_f32 v77, 0xbe8c1d8e, v116, -v154
	s_delay_alu instid0(VALU_DEP_2) | instskip(NEXT) | instid1(VALU_DEP_2)
	v_fmamk_f32 v76, v117, 0x3f65296c, v150
	v_add_f32_e32 v79, v77, v79
	s_delay_alu instid0(VALU_DEP_2) | instskip(SKIP_2) | instid1(VALU_DEP_2)
	v_dual_fmamk_f32 v77, v117, 0xbf763a35, v155 :: v_dual_add_f32 v76, v76, v78
	v_fmamk_f32 v78, v116, 0x3dbcf732, v157
	v_fma_f32 v157, 0x3dbcf732, v116, -v157
	v_dual_add_f32 v80, v77, v80 :: v_dual_add_f32 v77, v78, v81
	s_delay_alu instid0(VALU_DEP_2)
	v_dual_add_f32 v78, v160, v82 :: v_dual_add_f32 v81, v157, v156
	v_add_f32_e32 v82, v159, v158
	s_and_saveexec_b32 s1, vcc_lo
	s_cbranch_execz .LBB0_17
; %bb.16:
	v_mul_f32_e32 v159, 0xbf06c442, v103
	v_mul_f32_e32 v156, 0xbf1a4643, v102
	;; [unrolled: 1-line block ×5, first 2 shown]
	v_dual_sub_f32 v87, v87, v159 :: v_dual_mul_f32 v158, 0xbf59a7d5, v102
	v_mul_f32_e32 v161, 0x3f763a35, v105
	s_delay_alu instid0(VALU_DEP_3) | instskip(NEXT) | instid1(VALU_DEP_3)
	v_dual_mul_f32 v177, 0xbe3c28d5, v113 :: v_dual_sub_f32 v134, v134, v163
	v_add_f32_e32 v87, v74, v87
	s_delay_alu instid0(VALU_DEP_4) | instskip(SKIP_1) | instid1(VALU_DEP_3)
	v_dual_mul_f32 v157, 0xbf4c4adb, v103 :: v_dual_add_f32 v84, v158, v84
	v_mul_f32_e32 v160, 0xbe8c1d8e, v104
	v_dual_mul_f32 v168, 0xbf59a7d5, v108 :: v_dual_add_f32 v87, v134, v87
	s_delay_alu instid0(VALU_DEP_3) | instskip(SKIP_3) | instid1(VALU_DEP_4)
	v_sub_f32_e32 v39, v39, v157
	v_sub_f32_e32 v134, v139, v167
	v_mul_f32_e32 v162, 0x3ee437d1, v104
	v_dual_mul_f32 v172, 0x3f7ee86f, v111 :: v_dual_sub_f32 v85, v85, v161
	v_dual_mul_f32 v158, 0x3ee437d1, v116 :: v_dual_add_f32 v39, v74, v39
	s_delay_alu instid0(VALU_DEP_4) | instskip(NEXT) | instid1(VALU_DEP_4)
	v_add_f32_e32 v87, v134, v87
	v_dual_mul_f32 v165, 0xbeb8f4ab, v107 :: v_dual_add_f32 v88, v162, v88
	v_dual_add_f32 v84, v73, v84 :: v_dual_mul_f32 v171, 0x3f4c4adb, v109
	s_delay_alu instid0(VALU_DEP_4) | instskip(NEXT) | instid1(VALU_DEP_3)
	v_dual_mul_f32 v162, 0xbe8c1d8e, v116 :: v_dual_add_f32 v85, v85, v39
	v_sub_f32_e32 v90, v90, v165
	s_delay_alu instid0(VALU_DEP_3) | instskip(NEXT) | instid1(VALU_DEP_4)
	v_dual_add_f32 v84, v88, v84 :: v_dual_mul_f32 v169, 0xbf06c442, v109
	v_sub_f32_e32 v134, v142, v171
	s_delay_alu instid0(VALU_DEP_3) | instskip(SKIP_2) | instid1(VALU_DEP_4)
	v_dual_mul_f32 v164, 0x3f6eb680, v106 :: v_dual_add_f32 v85, v90, v85
	v_mul_f32_e32 v173, 0x3f6eb680, v110
	v_mul_f32_e32 v142, 0x3f2c7751, v115
	v_add_f32_e32 v87, v134, v87
	v_sub_f32_e32 v134, v146, v174
	v_mul_f32_e32 v166, 0x3dbcf732, v106
	v_mul_f32_e32 v167, 0xbe3c28d5, v115
	v_dual_mul_f32 v176, 0xbf7ba420, v112 :: v_dual_mul_f32 v139, 0xbf7ba420, v114
	s_delay_alu instid0(VALU_DEP_4) | instskip(NEXT) | instid1(VALU_DEP_4)
	v_add_f32_e32 v87, v134, v87
	v_dual_mul_f32 v159, 0x3dbcf732, v110 :: v_dual_add_f32 v88, v166, v137
	v_sub_f32_e32 v134, v152, v177
	v_mul_f32_e32 v170, 0xbf1a4643, v108
	v_dual_mul_f32 v175, 0xbf2c7751, v113 :: v_dual_add_f32 v38, v156, v38
	s_delay_alu instid0(VALU_DEP_3) | instskip(NEXT) | instid1(VALU_DEP_3)
	v_dual_add_f32 v84, v88, v84 :: v_dual_add_f32 v87, v134, v87
	v_dual_add_f32 v88, v170, v138 :: v_dual_mul_f32 v137, 0xbf763a35, v117
	v_sub_f32_e32 v134, v153, v142
	v_dual_mul_f32 v146, 0x3f65296c, v117 :: v_dual_add_f32 v83, v160, v83
	s_delay_alu instid0(VALU_DEP_3) | instskip(SKIP_1) | instid1(VALU_DEP_4)
	v_add_f32_e32 v84, v88, v84
	v_dual_mul_f32 v163, 0x3f3d2fb0, v112 :: v_dual_mul_f32 v178, 0x3f3d2fb0, v114
	v_dual_add_f32 v87, v134, v87 :: v_dual_sub_f32 v134, v155, v137
	v_dual_add_f32 v38, v73, v38 :: v_dual_mul_f32 v137, 0xbe8c1d8e, v121
	v_mul_f32_e32 v138, 0xbf59a7d5, v123
	s_delay_alu instid0(VALU_DEP_3) | instskip(SKIP_4) | instid1(VALU_DEP_4)
	v_dual_add_f32 v86, v164, v86 :: v_dual_add_f32 v39, v134, v87
	v_dual_sub_f32 v87, v135, v169 :: v_dual_add_f32 v88, v173, v143
	v_mul_f32_e32 v143, 0x3f06c442, v119
	v_mul_f32_e32 v179, 0x3f763a35, v122
	;; [unrolled: 1-line block ×3, first 2 shown]
	v_dual_add_f32 v85, v87, v85 :: v_dual_add_f32 v84, v88, v84
	v_sub_f32_e32 v87, v140, v172
	v_add_f32_e32 v88, v176, v148
	v_mul_f32_e32 v148, 0x3dbcf732, v121
	v_fmamk_f32 v181, v108, 0xbe8c1d8e, v179
	v_mul_f32_e32 v153, 0xbeb8f4ab, v128
	v_add_f32_e32 v85, v87, v85
	v_sub_f32_e32 v87, v144, v175
	v_dual_add_f32 v83, v83, v38 :: v_dual_add_f32 v84, v88, v84
	v_add_f32_e32 v88, v178, v151
	v_mul_f32_e32 v175, 0xbf4c4adb, v119
	s_delay_alu instid0(VALU_DEP_4) | instskip(NEXT) | instid1(VALU_DEP_4)
	v_add_f32_e32 v85, v87, v85
	v_add_f32_e32 v83, v86, v83
	v_sub_f32_e32 v86, v147, v167
	v_add_f32_e32 v84, v88, v84
	v_dual_add_f32 v88, v162, v154 :: v_dual_fmamk_f32 v87, v103, 0x3f763a35, v137
	v_fmamk_f32 v135, v104, 0xbf1a4643, v175
	s_delay_alu instid0(VALU_DEP_4) | instskip(NEXT) | instid1(VALU_DEP_3)
	v_add_f32_e32 v85, v86, v85
	v_dual_mul_f32 v147, 0xbf65296c, v122 :: v_dual_add_f32 v38, v88, v84
	v_add_f32_e32 v84, v168, v89
	v_dual_add_f32 v86, v74, v87 :: v_dual_add_f32 v89, v139, v145
	v_fmamk_f32 v87, v105, 0xbf06c442, v138
	v_mul_f32_e32 v139, 0xbf7ba420, v131
	s_delay_alu instid0(VALU_DEP_4)
	v_dual_add_f32 v83, v84, v83 :: v_dual_add_f32 v84, v159, v136
	v_mul_f32_e32 v136, 0x3f3d2fb0, v125
	v_mul_f32_e32 v152, 0xbe8c1d8e, v125
	;; [unrolled: 1-line block ×4, first 2 shown]
	v_dual_add_f32 v83, v84, v83 :: v_dual_add_f32 v84, v163, v141
	v_sub_f32_e32 v88, v150, v146
	v_mul_f32_e32 v141, 0xbf763a35, v118
	v_mul_f32_e32 v146, 0xbf1a4643, v133
	;; [unrolled: 1-line block ×3, first 2 shown]
	v_dual_add_f32 v83, v84, v83 :: v_dual_add_f32 v86, v87, v86
	v_fmamk_f32 v87, v107, 0xbf2c7751, v136
	v_mul_f32_e32 v160, 0xbf1a4643, v132
	s_delay_alu instid0(VALU_DEP_3) | instskip(SKIP_1) | instid1(VALU_DEP_4)
	v_dual_mul_f32 v162, 0x3f3d2fb0, v133 :: v_dual_add_f32 v83, v89, v83
	v_mul_f32_e32 v140, 0x3ee437d1, v127
	v_dual_add_f32 v84, v88, v85 :: v_dual_add_f32 v85, v87, v86
	v_dual_add_f32 v87, v158, v149 :: v_dual_fmamk_f32 v88, v104, 0xbf59a7d5, v143
	v_mul_f32_e32 v149, 0xbe3c28d5, v124
	v_mul_f32_e32 v164, 0x3ee437d1, v121
	;; [unrolled: 1-line block ×3, first 2 shown]
	s_delay_alu instid0(VALU_DEP_4) | instskip(SKIP_4) | instid1(VALU_DEP_4)
	v_add_f32_e32 v83, v87, v83
	v_fmamk_f32 v87, v102, 0xbe8c1d8e, v141
	v_mul_f32_e32 v142, 0x3dbcf732, v129
	v_mul_f32_e32 v166, 0xbf1a4643, v123
	v_dual_mul_f32 v183, 0x3dbcf732, v123 :: v_dual_fmamk_f32 v194, v104, 0x3dbcf732, v193
	v_add_f32_e32 v87, v73, v87
	v_fmamk_f32 v86, v109, 0x3f65296c, v140
	v_mul_f32_e32 v159, 0xbe3c28d5, v119
	v_dual_fmamk_f32 v134, v105, 0x3f4c4adb, v166 :: v_dual_mul_f32 v169, 0x3f4c4adb, v128
	s_delay_alu instid0(VALU_DEP_4) | instskip(NEXT) | instid1(VALU_DEP_4)
	v_add_f32_e32 v87, v88, v87
	v_dual_add_f32 v85, v86, v85 :: v_dual_fmamk_f32 v86, v111, 0x3e3c28d5, v139
	v_dual_mul_f32 v157, 0xbf7ee86f, v118 :: v_dual_mul_f32 v186, 0xbf7ee86f, v128
	v_mul_f32_e32 v161, 0x3f763a35, v120
	v_dual_mul_f32 v196, 0x3f6eb680, v133 :: v_dual_add_f32 v57, v57, v74
	s_delay_alu instid0(VALU_DEP_4) | instskip(SKIP_4) | instid1(VALU_DEP_4)
	v_dual_add_f32 v85, v86, v85 :: v_dual_fmamk_f32 v86, v113, 0xbf7ee86f, v142
	v_mul_f32_e32 v144, 0x3f6eb680, v132
	v_mul_f32_e32 v174, 0x3f6eb680, v129
	;; [unrolled: 1-line block ×3, first 2 shown]
	v_dual_fmamk_f32 v184, v105, 0x3f7ee86f, v183 :: v_dual_add_f32 v57, v59, v57
	v_dual_add_f32 v85, v86, v85 :: v_dual_fmamk_f32 v86, v115, 0x3eb8f4ab, v144
	v_mul_f32_e32 v165, 0xbf65296c, v124
	v_mul_f32_e32 v167, 0xbf06c442, v126
	v_dual_mul_f32 v171, 0x3f2c7751, v130 :: v_dual_mul_f32 v182, 0x3f2c7751, v124
	s_delay_alu instid0(VALU_DEP_4)
	v_dual_add_f32 v85, v86, v85 :: v_dual_fmamk_f32 v86, v117, 0x3f4c4adb, v146
	v_mul_f32_e32 v197, 0xbe3c28d5, v122
	v_mul_f32_e32 v187, 0xbf7ba420, v127
	;; [unrolled: 1-line block ×3, first 2 shown]
	v_dual_mul_f32 v178, 0xbf59a7d5, v133 :: v_dual_mul_f32 v189, 0xbf59a7d5, v131
	v_dual_add_f32 v86, v86, v85 :: v_dual_fmamk_f32 v85, v103, 0x3f7ee86f, v148
	v_mul_f32_e32 v180, 0x3f3d2fb0, v121
	s_delay_alu instid0(VALU_DEP_3) | instskip(SKIP_1) | instid1(VALU_DEP_4)
	v_dual_mul_f32 v188, 0xbf06c442, v130 :: v_dual_fmamk_f32 v191, v111, 0xbf06c442, v189
	v_mul_f32_e32 v195, 0xbf4c4adb, v120
	v_dual_add_f32 v85, v74, v85 :: v_dual_mul_f32 v150, 0xbf7ba420, v123
	v_mul_f32_e32 v123, 0x3f3d2fb0, v123
	v_mul_f32_e32 v202, 0x3eb8f4ab, v130
	v_mul_f32_e32 v121, 0x3f6eb680, v121
	v_fmac_f32_e32 v139, 0xbe3c28d5, v111
	v_fmamk_f32 v89, v105, 0x3e3c28d5, v150
	v_fmamk_f32 v200, v105, 0x3f2c7751, v123
	v_mul_f32_e32 v158, 0xbf59a7d5, v129
	v_mul_f32_e32 v173, 0xbf65296c, v118
	v_fmac_f32_e32 v138, 0x3f06c442, v105
	v_add_f32_e32 v85, v89, v85
	v_fmamk_f32 v89, v107, 0xbf763a35, v152
	v_mul_f32_e32 v154, 0x3f6eb680, v127
	v_mul_f32_e32 v176, 0x3dbcf732, v132
	v_fmac_f32_e32 v150, 0xbe3c28d5, v105
	s_delay_alu instid0(VALU_DEP_4) | instskip(NEXT) | instid1(VALU_DEP_4)
	v_dual_mul_f32 v190, 0xbf2c7751, v118 :: v_dual_add_f32 v85, v89, v85
	v_fmamk_f32 v89, v109, 0xbeb8f4ab, v154
	v_mul_f32_e32 v156, 0x3ee437d1, v131
	v_mul_f32_e32 v185, 0xbf1a4643, v125
	v_add_f32_e32 v49, v49, v57
	v_add_f32_e32 v56, v56, v73
	s_delay_alu instid0(VALU_DEP_4) | instskip(SKIP_1) | instid1(VALU_DEP_3)
	v_dual_add_f32 v89, v89, v85 :: v_dual_fmamk_f32 v90, v111, 0x3f65296c, v156
	v_mul_f32_e32 v145, 0x3f2c7751, v120
	v_dual_add_f32 v49, v51, v49 :: v_dual_add_f32 v56, v58, v56
	v_mul_f32_e32 v59, 0xbf1a4643, v129
	v_fmac_f32_e32 v137, 0xbf763a35, v103
	s_delay_alu instid0(VALU_DEP_3) | instskip(NEXT) | instid1(VALU_DEP_4)
	v_dual_fmamk_f32 v88, v106, 0x3f3d2fb0, v145 :: v_dual_add_f32 v49, v53, v49
	v_dual_add_f32 v48, v48, v56 :: v_dual_mul_f32 v125, 0x3ee437d1, v125
	v_fmac_f32_e32 v183, 0xbf7ee86f, v105
	s_delay_alu instid0(VALU_DEP_3) | instskip(SKIP_1) | instid1(VALU_DEP_4)
	v_add_f32_e32 v87, v88, v87
	v_fmamk_f32 v88, v108, 0x3ee437d1, v147
	v_add_f32_e32 v48, v50, v48
	v_mul_f32_e32 v201, 0x3f65296c, v128
	v_dual_mul_f32 v50, 0xbf2c7751, v119 :: v_dual_add_f32 v49, v55, v49
	s_delay_alu instid0(VALU_DEP_4) | instskip(NEXT) | instid1(VALU_DEP_4)
	v_dual_add_f32 v87, v88, v87 :: v_dual_fmamk_f32 v88, v110, 0xbf7ba420, v149
	v_add_f32_e32 v48, v52, v48
	s_delay_alu instid0(VALU_DEP_3) | instskip(NEXT) | instid1(VALU_DEP_4)
	v_fmamk_f32 v52, v104, 0x3f3d2fb0, v50
	v_dual_mul_f32 v58, 0xbf59a7d5, v132 :: v_dual_add_f32 v45, v45, v49
	s_delay_alu instid0(VALU_DEP_4) | instskip(SKIP_2) | instid1(VALU_DEP_4)
	v_add_f32_e32 v87, v88, v87
	v_fmamk_f32 v88, v112, 0x3dbcf732, v151
	v_dual_add_f32 v48, v54, v48 :: v_dual_fmamk_f32 v57, v113, 0x3f4c4adb, v59
	v_dual_mul_f32 v118, 0xbeb8f4ab, v118 :: v_dual_add_f32 v45, v47, v45
	s_delay_alu instid0(VALU_DEP_3) | instskip(NEXT) | instid1(VALU_DEP_3)
	v_dual_add_f32 v87, v88, v87 :: v_dual_fmamk_f32 v88, v114, 0x3f6eb680, v153
	v_add_f32_e32 v44, v44, v48
	v_mul_f32_e32 v198, 0x3f06c442, v124
	s_delay_alu instid0(VALU_DEP_4) | instskip(NEXT) | instid1(VALU_DEP_4)
	v_dual_fmamk_f32 v56, v115, 0x3f06c442, v58 :: v_dual_add_f32 v45, v41, v45
	v_add_f32_e32 v87, v88, v87
	v_fmamk_f32 v88, v116, 0xbf1a4643, v155
	v_add_f32_e32 v44, v46, v44
	v_mul_f32_e32 v55, 0xbf65296c, v120
	v_dual_add_f32 v43, v43, v45 :: v_dual_mul_f32 v46, 0xbf763a35, v124
	s_delay_alu instid0(VALU_DEP_4) | instskip(SKIP_2) | instid1(VALU_DEP_4)
	v_dual_add_f32 v85, v88, v87 :: v_dual_add_f32 v88, v90, v89
	v_fmamk_f32 v89, v113, 0x3f06c442, v158
	v_fmamk_f32 v87, v102, 0x3dbcf732, v157
	v_dual_add_f32 v37, v37, v43 :: v_dual_add_f32 v40, v40, v44
	v_fmamk_f32 v44, v110, 0xbe8c1d8e, v46
	s_delay_alu instid0(VALU_DEP_4) | instskip(NEXT) | instid1(VALU_DEP_4)
	v_dual_add_f32 v88, v89, v88 :: v_dual_fmamk_f32 v89, v115, 0xbf4c4adb, v160
	v_add_f32_e32 v87, v73, v87
	s_delay_alu instid0(VALU_DEP_4) | instskip(SKIP_1) | instid1(VALU_DEP_4)
	v_dual_mul_f32 v45, 0xbf4c4adb, v126 :: v_dual_add_f32 v40, v42, v40
	v_add_f32_e32 v42, v74, v137
	v_add_f32_e32 v88, v89, v88
	v_fmamk_f32 v89, v117, 0xbf2c7751, v162
	s_delay_alu instid0(VALU_DEP_4) | instskip(NEXT) | instid1(VALU_DEP_4)
	v_dual_add_f32 v37, v66, v37 :: v_dual_add_f32 v36, v36, v40
	v_add_f32_e32 v40, v138, v42
	v_fmac_f32_e32 v136, 0x3f2c7751, v107
	s_delay_alu instid0(VALU_DEP_3)
	v_dual_add_f32 v88, v89, v88 :: v_dual_add_f32 v37, v64, v37
	v_fmamk_f32 v89, v103, 0x3f65296c, v164
	v_fmac_f32_e32 v146, 0xbf4c4adb, v117
	v_fmac_f32_e32 v148, 0xbf7ee86f, v103
	;; [unrolled: 1-line block ×3, first 2 shown]
	v_add_f32_e32 v37, v62, v37
	v_dual_add_f32 v89, v74, v89 :: v_dual_fmamk_f32 v90, v104, 0xbf7ba420, v159
	v_add_f32_e32 v40, v136, v40
	v_fma_f32 v46, 0xbe8c1d8e, v110, -v46
	s_delay_alu instid0(VALU_DEP_4) | instskip(NEXT) | instid1(VALU_DEP_4)
	v_add_f32_e32 v1, v1, v37
	v_dual_add_f32 v89, v134, v89 :: v_dual_fmamk_f32 v134, v107, 0xbe3c28d5, v168
	v_add_f32_e32 v87, v90, v87
	s_delay_alu instid0(VALU_DEP_3) | instskip(NEXT) | instid1(VALU_DEP_3)
	v_dual_fmamk_f32 v90, v106, 0xbe8c1d8e, v161 :: v_dual_add_f32 v1, v3, v1
	v_dual_fmac_f32 v58, 0xbf06c442, v115 :: v_dual_add_f32 v89, v134, v89
	v_mul_f32_e32 v170, 0xbe8c1d8e, v127
	s_delay_alu instid0(VALU_DEP_3)
	v_add_f32_e32 v87, v90, v87
	v_mul_f32_e32 v127, 0x3dbcf732, v127
	v_fmac_f32_e32 v189, 0x3f06c442, v111
	v_fmac_f32_e32 v152, 0x3f763a35, v107
	v_fmamk_f32 v134, v109, 0xbf763a35, v170
	v_fmac_f32_e32 v123, 0xbf2c7751, v105
	v_fmac_f32_e32 v59, 0xbf4c4adb, v113
	s_delay_alu instid0(VALU_DEP_3) | instskip(SKIP_2) | instid1(VALU_DEP_3)
	v_dual_add_f32 v89, v134, v89 :: v_dual_mul_f32 v172, 0x3f3d2fb0, v131
	v_mul_f32_e32 v131, 0xbe8c1d8e, v131
	v_dual_mul_f32 v199, 0x3f763a35, v126 :: v_dual_fmac_f32 v170, 0x3f763a35, v109
	v_fmamk_f32 v134, v111, 0xbf2c7751, v172
	s_delay_alu instid0(VALU_DEP_1) | instskip(SKIP_1) | instid1(VALU_DEP_2)
	v_dual_add_f32 v89, v134, v89 :: v_dual_fmamk_f32 v134, v113, 0x3eb8f4ab, v174
	v_fmamk_f32 v90, v108, 0x3f6eb680, v163
	v_dual_fmac_f32 v172, 0x3f2c7751, v111 :: v_dual_add_f32 v89, v134, v89
	s_delay_alu instid0(VALU_DEP_2) | instskip(SKIP_3) | instid1(VALU_DEP_3)
	v_add_f32_e32 v87, v90, v87
	v_fmamk_f32 v90, v110, 0x3ee437d1, v165
	v_fmamk_f32 v134, v115, 0x3f7ee86f, v176
	v_fmac_f32_e32 v176, 0xbf7ee86f, v115
	v_dual_add_f32 v87, v90, v87 :: v_dual_fmamk_f32 v90, v112, 0xbf59a7d5, v167
	s_delay_alu instid0(VALU_DEP_3) | instskip(NEXT) | instid1(VALU_DEP_2)
	v_dual_add_f32 v89, v134, v89 :: v_dual_fmamk_f32 v134, v117, 0x3f06c442, v178
	v_dual_fmac_f32 v178, 0xbf06c442, v117 :: v_dual_add_f32 v87, v90, v87
	v_fmamk_f32 v90, v114, 0xbf1a4643, v169
	v_fmac_f32_e32 v164, 0xbf65296c, v103
	s_delay_alu instid0(VALU_DEP_2) | instskip(SKIP_1) | instid1(VALU_DEP_2)
	v_dual_add_f32 v87, v90, v87 :: v_dual_fmamk_f32 v90, v116, 0x3f3d2fb0, v171
	v_fmac_f32_e32 v168, 0x3e3c28d5, v107
	v_add_f32_e32 v87, v90, v87
	v_fmamk_f32 v90, v102, 0x3ee437d1, v173
	s_delay_alu instid0(VALU_DEP_1) | instskip(NEXT) | instid1(VALU_DEP_1)
	v_add_f32_e32 v90, v73, v90
	v_dual_add_f32 v90, v135, v90 :: v_dual_fmamk_f32 v135, v106, 0xbf7ba420, v177
	s_delay_alu instid0(VALU_DEP_1) | instskip(NEXT) | instid1(VALU_DEP_1)
	v_dual_add_f32 v135, v135, v90 :: v_dual_add_f32 v90, v134, v89
	v_dual_fmamk_f32 v89, v103, 0x3f2c7751, v180 :: v_dual_add_f32 v134, v181, v135
	v_fmamk_f32 v135, v110, 0x3f3d2fb0, v182
	v_mul_f32_e32 v181, 0xbeb8f4ab, v126
	s_delay_alu instid0(VALU_DEP_2) | instskip(NEXT) | instid1(VALU_DEP_2)
	v_dual_add_f32 v89, v74, v89 :: v_dual_add_f32 v134, v135, v134
	v_fmamk_f32 v135, v112, 0x3f6eb680, v181
	s_delay_alu instid0(VALU_DEP_2) | instskip(SKIP_2) | instid1(VALU_DEP_4)
	v_dual_add_f32 v89, v184, v89 :: v_dual_fmamk_f32 v184, v107, 0x3f4c4adb, v185
	v_fmac_f32_e32 v185, 0xbf4c4adb, v107
	v_fmac_f32_e32 v140, 0xbf65296c, v109
	v_dual_add_f32 v134, v135, v134 :: v_dual_fmamk_f32 v135, v114, 0x3dbcf732, v186
	s_delay_alu instid0(VALU_DEP_4) | instskip(NEXT) | instid1(VALU_DEP_3)
	v_dual_add_f32 v89, v184, v89 :: v_dual_fmamk_f32 v184, v109, 0x3e3c28d5, v187
	v_add_f32_e32 v40, v140, v40
	v_fmac_f32_e32 v174, 0xbeb8f4ab, v113
	s_delay_alu instid0(VALU_DEP_4) | instskip(NEXT) | instid1(VALU_DEP_1)
	v_dual_add_f32 v134, v135, v134 :: v_dual_fmamk_f32 v135, v116, 0xbf59a7d5, v188
	v_dual_add_f32 v184, v184, v89 :: v_dual_add_f32 v89, v135, v134
	s_delay_alu instid0(VALU_DEP_1) | instskip(SKIP_1) | instid1(VALU_DEP_2)
	v_dual_add_f32 v135, v191, v184 :: v_dual_fmamk_f32 v184, v113, 0xbf763a35, v192
	v_mul_f32_e32 v191, 0x3ee437d1, v132
	v_dual_fmac_f32 v192, 0x3f763a35, v113 :: v_dual_add_f32 v135, v184, v135
	s_delay_alu instid0(VALU_DEP_2) | instskip(NEXT) | instid1(VALU_DEP_1)
	v_fmamk_f32 v184, v115, 0xbf65296c, v191
	v_dual_add_f32 v135, v184, v135 :: v_dual_fmamk_f32 v184, v117, 0xbeb8f4ab, v196
	v_fmamk_f32 v134, v102, 0x3f3d2fb0, v190
	v_fmac_f32_e32 v180, 0xbf2c7751, v103
	v_fmac_f32_e32 v144, 0xbeb8f4ab, v115
	s_delay_alu instid0(VALU_DEP_4) | instskip(NEXT) | instid1(VALU_DEP_4)
	v_dual_fmac_f32 v196, 0x3eb8f4ab, v117 :: v_dual_add_f32 v135, v184, v135
	v_add_f32_e32 v134, v73, v134
	v_fmac_f32_e32 v166, 0xbf4c4adb, v105
	s_delay_alu instid0(VALU_DEP_2) | instskip(SKIP_1) | instid1(VALU_DEP_1)
	v_add_f32_e32 v134, v194, v134
	v_fmamk_f32 v194, v106, 0xbf1a4643, v195
	v_add_f32_e32 v134, v194, v134
	v_fmamk_f32 v194, v108, 0xbf7ba420, v197
	s_delay_alu instid0(VALU_DEP_1) | instskip(SKIP_1) | instid1(VALU_DEP_1)
	v_dual_fmac_f32 v187, 0xbe3c28d5, v109 :: v_dual_add_f32 v134, v194, v134
	v_fmamk_f32 v194, v110, 0xbf59a7d5, v198
	v_add_f32_e32 v134, v194, v134
	v_fmamk_f32 v194, v112, 0xbe8c1d8e, v199
	s_delay_alu instid0(VALU_DEP_1) | instskip(SKIP_1) | instid1(VALU_DEP_1)
	v_add_f32_e32 v134, v194, v134
	v_fmamk_f32 v194, v114, 0x3ee437d1, v201
	v_dual_fmac_f32 v191, 0x3f65296c, v115 :: v_dual_add_f32 v134, v194, v134
	v_fmamk_f32 v194, v116, 0x3f6eb680, v202
	v_fmamk_f32 v184, v103, 0x3eb8f4ab, v121
	v_fma_f32 v54, 0x3dbcf732, v104, -v193
	v_fmac_f32_e32 v154, 0x3eb8f4ab, v109
	s_delay_alu instid0(VALU_DEP_4) | instskip(NEXT) | instid1(VALU_DEP_4)
	v_dual_fmac_f32 v121, 0xbeb8f4ab, v103 :: v_dual_add_f32 v134, v194, v134
	v_add_f32_e32 v184, v74, v184
	s_delay_alu instid0(VALU_DEP_1) | instskip(SKIP_1) | instid1(VALU_DEP_1)
	v_add_f32_e32 v184, v200, v184
	v_fmamk_f32 v200, v107, 0x3f65296c, v125
	v_dual_fmac_f32 v125, 0xbf65296c, v107 :: v_dual_add_f32 v184, v200, v184
	v_fmamk_f32 v200, v109, 0x3f7ee86f, v127
	v_fmac_f32_e32 v127, 0xbf7ee86f, v109
	v_fmac_f32_e32 v160, 0x3f4c4adb, v115
	s_delay_alu instid0(VALU_DEP_3) | instskip(SKIP_2) | instid1(VALU_DEP_2)
	v_add_f32_e32 v184, v200, v184
	v_fmamk_f32 v200, v111, 0x3f763a35, v131
	v_fmac_f32_e32 v131, 0xbf763a35, v111
	v_add_f32_e32 v129, v200, v184
	s_delay_alu instid0(VALU_DEP_1) | instskip(SKIP_1) | instid1(VALU_DEP_2)
	v_add_f32_e32 v51, v57, v129
	v_fmamk_f32 v57, v102, 0x3f6eb680, v118
	v_dual_add_f32 v51, v56, v51 :: v_dual_mul_f32 v56, 0xbf7ba420, v133
	s_delay_alu instid0(VALU_DEP_2) | instskip(NEXT) | instid1(VALU_DEP_2)
	v_add_f32_e32 v53, v73, v57
	v_fmamk_f32 v47, v117, 0x3e3c28d5, v56
	s_delay_alu instid0(VALU_DEP_1) | instskip(NEXT) | instid1(VALU_DEP_3)
	v_dual_fmac_f32 v56, 0xbe3c28d5, v117 :: v_dual_add_f32 v41, v47, v51
	v_add_f32_e32 v49, v52, v53
	v_mul_f32_e32 v53, 0xbf7ee86f, v122
	v_fmamk_f32 v52, v106, 0x3ee437d1, v55
	v_fma_f32 v51, 0xbf1a4643, v104, -v175
	s_delay_alu instid0(VALU_DEP_2) | instskip(NEXT) | instid1(VALU_DEP_4)
	v_add_f32_e32 v48, v52, v49
	v_fmamk_f32 v49, v108, 0x3dbcf732, v53
	s_delay_alu instid0(VALU_DEP_1) | instskip(SKIP_3) | instid1(VALU_DEP_4)
	v_add_f32_e32 v47, v49, v48
	v_fma_f32 v50, 0x3f3d2fb0, v104, -v50
	v_fmac_f32_e32 v156, 0xbf65296c, v111
	v_fma_f32 v48, 0xbf59a7d5, v112, -v167
	v_add_f32_e32 v43, v44, v47
	v_fmamk_f32 v44, v112, 0xbf1a4643, v45
	v_mul_f32_e32 v47, 0xbe3c28d5, v130
	v_fma_f32 v45, 0xbf1a4643, v112, -v45
	v_fmac_f32_e32 v162, 0x3f2c7751, v117
	v_fmac_f32_e32 v142, 0x3f7ee86f, v113
	v_add_f32_e32 v42, v44, v43
	v_mul_f32_e32 v44, 0xbf06c442, v128
	s_delay_alu instid0(VALU_DEP_1) | instskip(SKIP_1) | instid1(VALU_DEP_2)
	v_dual_fmamk_f32 v43, v114, 0xbf59a7d5, v44 :: v_dual_add_f32 v36, v65, v36
	v_fma_f32 v44, 0xbf59a7d5, v114, -v44
	v_dual_add_f32 v42, v43, v42 :: v_dual_fmamk_f32 v43, v116, 0xbf7ba420, v47
	v_add_f32_e32 v37, v139, v40
	s_delay_alu instid0(VALU_DEP_4) | instskip(NEXT) | instid1(VALU_DEP_3)
	v_add_f32_e32 v36, v63, v36
	v_add_f32_e32 v40, v43, v42
	v_fma_f32 v42, 0xbe8c1d8e, v102, -v141
	s_delay_alu instid0(VALU_DEP_3) | instskip(SKIP_2) | instid1(VALU_DEP_3)
	v_dual_add_f32 v3, v142, v37 :: v_dual_add_f32 v36, v61, v36
	v_fma_f32 v37, 0xbf59a7d5, v104, -v143
	v_fma_f32 v43, 0xbf7ba420, v104, -v159
	v_add_f32_e32 v0, v0, v36
	v_add_f32_e32 v36, v73, v42
	;; [unrolled: 1-line block ×3, first 2 shown]
	s_delay_alu instid0(VALU_DEP_3) | instskip(SKIP_1) | instid1(VALU_DEP_4)
	v_add_f32_e32 v0, v2, v0
	v_add_f32_e32 v2, v144, v3
	;; [unrolled: 1-line block ×3, first 2 shown]
	v_fma_f32 v37, 0x3f3d2fb0, v106, -v145
	v_add_f32_e32 v42, v150, v42
	s_delay_alu instid0(VALU_DEP_4) | instskip(SKIP_1) | instid1(VALU_DEP_4)
	v_add_f32_e32 v3, v146, v2
	v_fma_f32 v2, 0x3dbcf732, v102, -v157
	v_add_f32_e32 v36, v37, v36
	v_fma_f32 v37, 0x3ee437d1, v108, -v147
	v_add_f32_e32 v42, v152, v42
	s_delay_alu instid0(VALU_DEP_4) | instskip(NEXT) | instid1(VALU_DEP_3)
	v_add_f32_e32 v2, v73, v2
	v_add_f32_e32 v36, v37, v36
	v_fma_f32 v37, 0xbf7ba420, v110, -v149
	s_delay_alu instid0(VALU_DEP_4) | instskip(NEXT) | instid1(VALU_DEP_4)
	v_add_f32_e32 v42, v154, v42
	v_add_f32_e32 v2, v43, v2
	v_fma_f32 v43, 0xbe8c1d8e, v106, -v161
	s_delay_alu instid0(VALU_DEP_4) | instskip(SKIP_2) | instid1(VALU_DEP_4)
	v_add_f32_e32 v36, v37, v36
	v_fma_f32 v37, 0x3dbcf732, v112, -v151
	v_add_f32_e32 v42, v156, v42
	v_add_f32_e32 v2, v43, v2
	v_fma_f32 v43, 0x3f6eb680, v108, -v163
	s_delay_alu instid0(VALU_DEP_4) | instskip(SKIP_2) | instid1(VALU_DEP_4)
	v_add_f32_e32 v36, v37, v36
	v_fma_f32 v37, 0x3f6eb680, v114, -v153
	v_add_f32_e32 v42, v158, v42
	v_add_f32_e32 v2, v43, v2
	v_fma_f32 v43, 0x3ee437d1, v110, -v165
	s_delay_alu instid0(VALU_DEP_4) | instskip(SKIP_1) | instid1(VALU_DEP_1)
	v_add_f32_e32 v36, v37, v36
	v_fma_f32 v37, 0xbf1a4643, v116, -v155
	v_dual_add_f32 v43, v43, v2 :: v_dual_add_f32 v2, v37, v36
	v_add_f32_e32 v36, v160, v42
	s_delay_alu instid0(VALU_DEP_2) | instskip(SKIP_2) | instid1(VALU_DEP_4)
	v_add_f32_e32 v42, v48, v43
	v_fma_f32 v43, 0xbf1a4643, v114, -v169
	v_add_f32_e32 v48, v74, v164
	v_add_f32_e32 v37, v162, v36
	v_fma_f32 v36, 0x3ee437d1, v102, -v173
	s_delay_alu instid0(VALU_DEP_4) | instskip(SKIP_2) | instid1(VALU_DEP_2)
	v_add_f32_e32 v42, v43, v42
	v_fma_f32 v43, 0x3f3d2fb0, v116, -v171
	v_add_f32_e32 v48, v166, v48
	v_dual_add_f32 v49, v73, v36 :: v_dual_add_f32 v36, v43, v42
	s_delay_alu instid0(VALU_DEP_2) | instskip(SKIP_1) | instid1(VALU_DEP_3)
	v_add_f32_e32 v42, v168, v48
	v_fma_f32 v48, 0xbf7ba420, v106, -v177
	v_add_f32_e32 v43, v51, v49
	v_add_f32_e32 v49, v74, v180
	v_fma_f32 v51, 0x3dbcf732, v114, -v186
	s_delay_alu instid0(VALU_DEP_3) | instskip(SKIP_1) | instid1(VALU_DEP_2)
	v_dual_add_f32 v42, v170, v42 :: v_dual_add_f32 v43, v48, v43
	v_fma_f32 v48, 0xbe8c1d8e, v108, -v179
	v_dual_add_f32 v49, v183, v49 :: v_dual_add_f32 v42, v172, v42
	s_delay_alu instid0(VALU_DEP_2) | instskip(SKIP_1) | instid1(VALU_DEP_3)
	v_add_f32_e32 v43, v48, v43
	v_fma_f32 v48, 0x3f3d2fb0, v110, -v182
	v_dual_add_f32 v49, v185, v49 :: v_dual_add_f32 v42, v174, v42
	s_delay_alu instid0(VALU_DEP_2) | instskip(SKIP_1) | instid1(VALU_DEP_3)
	v_add_f32_e32 v43, v48, v43
	v_fma_f32 v48, 0x3f6eb680, v112, -v181
	v_dual_add_f32 v49, v187, v49 :: v_dual_add_f32 v42, v176, v42
	s_delay_alu instid0(VALU_DEP_1) | instskip(NEXT) | instid1(VALU_DEP_2)
	v_dual_add_f32 v48, v48, v43 :: v_dual_add_f32 v49, v189, v49
	v_add_f32_e32 v43, v178, v42
	v_fma_f32 v42, 0x3f3d2fb0, v102, -v190
	s_delay_alu instid0(VALU_DEP_3) | instskip(SKIP_1) | instid1(VALU_DEP_3)
	v_add_f32_e32 v48, v51, v48
	v_fma_f32 v51, 0xbf59a7d5, v116, -v188
	v_dual_add_f32 v49, v192, v49 :: v_dual_add_f32 v52, v73, v42
	s_delay_alu instid0(VALU_DEP_2) | instskip(NEXT) | instid1(VALU_DEP_2)
	v_add_f32_e32 v42, v51, v48
	v_add_f32_e32 v48, v191, v49
	v_fma_f32 v49, 0x3f6eb680, v102, -v118
	s_delay_alu instid0(VALU_DEP_4) | instskip(SKIP_2) | instid1(VALU_DEP_4)
	v_add_f32_e32 v51, v54, v52
	v_fma_f32 v52, 0xbf1a4643, v106, -v195
	v_add_f32_e32 v54, v74, v121
	v_add_f32_e32 v49, v73, v49
	s_delay_alu instid0(VALU_DEP_3) | instskip(SKIP_1) | instid1(VALU_DEP_3)
	v_add_f32_e32 v51, v52, v51
	v_fma_f32 v52, 0xbf7ba420, v108, -v197
	v_dual_add_f32 v54, v123, v54 :: v_dual_add_f32 v49, v50, v49
	v_fma_f32 v50, 0x3ee437d1, v106, -v55
	s_delay_alu instid0(VALU_DEP_3) | instskip(SKIP_1) | instid1(VALU_DEP_3)
	v_add_f32_e32 v51, v52, v51
	v_fma_f32 v52, 0xbf59a7d5, v110, -v198
	v_dual_add_f32 v54, v125, v54 :: v_dual_add_f32 v49, v50, v49
	v_fma_f32 v50, 0x3dbcf732, v108, -v53
	s_delay_alu instid0(VALU_DEP_3) | instskip(SKIP_1) | instid1(VALU_DEP_4)
	v_add_f32_e32 v51, v52, v51
	v_fma_f32 v52, 0xbe8c1d8e, v112, -v199
	v_add_f32_e32 v53, v127, v54
	s_delay_alu instid0(VALU_DEP_2) | instskip(SKIP_1) | instid1(VALU_DEP_3)
	v_dual_add_f32 v49, v50, v49 :: v_dual_add_f32 v50, v52, v51
	v_fma_f32 v51, 0x3ee437d1, v114, -v201
	v_add_f32_e32 v52, v131, v53
	s_delay_alu instid0(VALU_DEP_3) | instskip(SKIP_1) | instid1(VALU_DEP_4)
	v_add_f32_e32 v46, v46, v49
	v_fma_f32 v53, 0xbf7ba420, v116, -v47
	v_add_f32_e32 v49, v51, v50
	s_delay_alu instid0(VALU_DEP_3) | instskip(SKIP_2) | instid1(VALU_DEP_3)
	v_dual_add_f32 v50, v59, v52 :: v_dual_add_f32 v45, v45, v46
	v_and_b32_e32 v51, 0xffff, v95
	v_fma_f32 v46, 0x3f6eb680, v116, -v202
	v_add_f32_e32 v50, v58, v50
	s_delay_alu instid0(VALU_DEP_4) | instskip(NEXT) | instid1(VALU_DEP_4)
	v_add_f32_e32 v52, v44, v45
	v_lshl_add_u32 v51, v51, 3, v94
	s_delay_alu instid0(VALU_DEP_4) | instskip(NEXT) | instid1(VALU_DEP_3)
	v_dual_add_f32 v45, v196, v48 :: v_dual_add_f32 v44, v46, v49
	v_dual_add_f32 v47, v56, v50 :: v_dual_add_f32 v46, v53, v52
	ds_store_2addr_b64 v51, v[0:1], v[40:41] offset1:1
	ds_store_2addr_b64 v51, v[134:135], v[89:90] offset0:2 offset1:3
	ds_store_2addr_b64 v51, v[87:88], v[85:86] offset0:4 offset1:5
	;; [unrolled: 1-line block ×7, first 2 shown]
	ds_store_b64 v51, v[46:47] offset:128
.LBB0_17:
	s_wait_alu 0xfffe
	s_or_b32 exec_lo, exec_lo, s1
	v_add_nc_u32_e32 v48, 0x800, v96
	v_add_nc_u32_e32 v36, 0x1000, v96
	global_wb scope:SCOPE_SE
	s_wait_dscnt 0x0
	s_barrier_signal -1
	s_barrier_wait -1
	global_inv scope:SCOPE_SE
	ds_load_2addr_b64 v[0:3], v96 offset1:68
	ds_load_2addr_b64 v[44:47], v96 offset0:187 offset1:255
	ds_load_2addr_b64 v[40:43], v48 offset0:118 offset1:186
	;; [unrolled: 1-line block ×3, first 2 shown]
	s_and_saveexec_b32 s1, s0
	s_cbranch_execz .LBB0_19
; %bb.18:
	ds_load_2addr_b64 v[48:51], v48 offset0:67 offset1:254
	ds_load_b64 v[77:78], v96 offset:1088
	ds_load_b64 v[75:76], v96 offset:5576
	s_wait_dscnt 0x2
	v_dual_mov_b32 v79, v50 :: v_dual_mov_b32 v80, v51
	v_dual_mov_b32 v81, v48 :: v_dual_mov_b32 v82, v49
.LBB0_19:
	s_wait_alu 0xfffe
	s_or_b32 exec_lo, exec_lo, s1
	s_wait_dscnt 0x2
	v_mul_f32_e32 v48, v21, v45
	v_mul_f32_e32 v21, v21, v44
	s_wait_dscnt 0x1
	v_mul_f32_e32 v49, v23, v41
	v_mul_f32_e32 v23, v23, v40
	global_wb scope:SCOPE_SE
	s_wait_dscnt 0x0
	v_fmac_f32_e32 v48, v20, v44
	v_fma_f32 v20, v20, v45, -v21
	v_dual_fmac_f32 v49, v22, v40 :: v_dual_mul_f32 v40, v9, v47
	v_mul_f32_e32 v21, v72, v37
	v_fma_f32 v22, v22, v41, -v23
	v_mul_f32_e32 v23, v72, v36
	v_mul_f32_e32 v9, v9, v46
	s_delay_alu instid0(VALU_DEP_4) | instskip(SKIP_2) | instid1(VALU_DEP_3)
	v_dual_fmac_f32 v40, v8, v46 :: v_dual_fmac_f32 v21, v71, v36
	v_mul_f32_e32 v36, v11, v43
	s_barrier_signal -1
	v_fma_f32 v9, v8, v47, -v9
	v_mul_f32_e32 v8, v11, v42
	v_fma_f32 v23, v71, v37, -v23
	v_dual_sub_f32 v37, v0, v49 :: v_dual_fmac_f32 v36, v10, v42
	v_mul_f32_e32 v42, v70, v38
	s_delay_alu instid0(VALU_DEP_3) | instskip(SKIP_1) | instid1(VALU_DEP_4)
	v_dual_sub_f32 v41, v1, v22 :: v_dual_sub_f32 v22, v20, v23
	v_mul_f32_e32 v23, v70, v39
	v_fma_f32 v11, v0, 2.0, -v37
	v_sub_f32_e32 v21, v48, v21
	v_fma_f32 v10, v10, v43, -v8
	s_barrier_wait -1
	v_dual_fmac_f32 v23, v69, v38 :: v_dual_sub_f32 v38, v2, v36
	v_fma_f32 v44, v1, 2.0, -v41
	v_fma_f32 v1, v20, 2.0, -v22
	v_fma_f32 v20, v69, v39, -v42
	v_fma_f32 v0, v48, 2.0, -v21
	v_sub_f32_e32 v23, v40, v23
	v_fma_f32 v42, v2, 2.0, -v38
	s_delay_alu instid0(VALU_DEP_4)
	v_dual_sub_f32 v1, v44, v1 :: v_dual_sub_f32 v36, v9, v20
	v_sub_f32_e32 v39, v3, v10
	v_sub_f32_e32 v0, v11, v0
	v_add_f32_e32 v10, v37, v22
	global_inv scope:SCOPE_SE
	v_fma_f32 v22, v9, 2.0, -v36
	v_fma_f32 v43, v3, 2.0, -v39
	v_fma_f32 v3, v40, 2.0, -v23
	v_fma_f32 v8, v11, 2.0, -v0
	v_sub_f32_e32 v11, v41, v21
	v_fma_f32 v9, v44, 2.0, -v1
	v_dual_sub_f32 v21, v43, v22 :: v_dual_add_f32 v22, v38, v36
	v_sub_f32_e32 v20, v42, v3
	v_sub_f32_e32 v23, v39, v23
	v_fma_f32 v2, v37, 2.0, -v10
	v_fma_f32 v3, v41, 2.0, -v11
	;; [unrolled: 1-line block ×6, first 2 shown]
	ds_store_2addr_b64 v101, v[8:9], v[2:3] offset1:17
	ds_store_2addr_b64 v101, v[0:1], v[10:11] offset0:34 offset1:51
	ds_store_2addr_b64 v100, v[36:37], v[38:39] offset1:17
	ds_store_2addr_b64 v100, v[20:21], v[22:23] offset0:34 offset1:51
	s_and_saveexec_b32 s1, s0
	s_cbranch_execz .LBB0_21
; %bb.20:
	v_dual_mul_f32 v2, v7, v80 :: v_dual_mul_f32 v3, v5, v81
	v_dual_mul_f32 v0, v7, v79 :: v_dual_mul_f32 v1, v5, v82
	s_delay_alu instid0(VALU_DEP_2) | instskip(NEXT) | instid1(VALU_DEP_3)
	v_dual_mul_f32 v7, v68, v76 :: v_dual_fmac_f32 v2, v6, v79
	v_fma_f32 v3, v4, v82, -v3
	v_mul_f32_e32 v5, v68, v75
	s_delay_alu instid0(VALU_DEP_4) | instskip(SKIP_2) | instid1(VALU_DEP_4)
	v_fma_f32 v0, v6, v80, -v0
	v_fmac_f32_e32 v1, v4, v81
	v_mul_u32_u24_e32 v9, 0x44, v99
	v_fma_f32 v4, v67, v76, -v5
	s_delay_alu instid0(VALU_DEP_4) | instskip(NEXT) | instid1(VALU_DEP_2)
	v_sub_f32_e32 v5, v78, v0
	v_dual_sub_f32 v0, v3, v4 :: v_dual_add_nc_u32 v9, v9, v98
	v_dual_sub_f32 v4, v77, v2 :: v_dual_fmac_f32 v7, v67, v75
	s_delay_alu instid0(VALU_DEP_2) | instskip(NEXT) | instid1(VALU_DEP_2)
	v_fma_f32 v3, v3, 2.0, -v0
	v_add_f32_e32 v0, v4, v0
	s_delay_alu instid0(VALU_DEP_3) | instskip(SKIP_2) | instid1(VALU_DEP_4)
	v_sub_f32_e32 v2, v1, v7
	v_fma_f32 v6, v78, 2.0, -v5
	v_fma_f32 v8, v77, 2.0, -v4
	;; [unrolled: 1-line block ×3, first 2 shown]
	s_delay_alu instid0(VALU_DEP_4) | instskip(SKIP_2) | instid1(VALU_DEP_3)
	v_fma_f32 v7, v1, 2.0, -v2
	v_sub_f32_e32 v1, v5, v2
	v_sub_f32_e32 v3, v6, v3
	;; [unrolled: 1-line block ×3, first 2 shown]
	s_delay_alu instid0(VALU_DEP_3) | instskip(NEXT) | instid1(VALU_DEP_3)
	v_fma_f32 v5, v5, 2.0, -v1
	v_fma_f32 v7, v6, 2.0, -v3
	s_delay_alu instid0(VALU_DEP_3)
	v_fma_f32 v6, v8, 2.0, -v2
	v_lshl_add_u32 v8, v9, 3, v94
	ds_store_2addr_b64 v8, v[6:7], v[4:5] offset1:17
	ds_store_2addr_b64 v8, v[2:3], v[0:1] offset0:34 offset1:51
.LBB0_21:
	s_wait_alu 0xfffe
	s_or_b32 exec_lo, exec_lo, s1
	global_wb scope:SCOPE_SE
	s_wait_dscnt 0x0
	s_barrier_signal -1
	s_barrier_wait -1
	global_inv scope:SCOPE_SE
	ds_load_2addr_b64 v[0:3], v96 offset1:68
	ds_load_2addr_b64 v[4:7], v96 offset0:136 offset1:204
	v_add_nc_u32_e32 v20, 0x800, v96
	v_add_nc_u32_e32 v36, 0x1000, v96
	s_wait_dscnt 0x1
	v_mul_f32_e32 v42, v33, v3
	v_mul_f32_e32 v33, v33, v2
	ds_load_2addr_b64 v[8:11], v20 offset0:16 offset1:84
	s_wait_dscnt 0x1
	v_mul_f32_e32 v43, v35, v5
	v_mul_f32_e32 v35, v35, v4
	ds_load_2addr_b64 v[20:23], v20 offset0:152 offset1:220
	ds_load_b64 v[40:41], v96 offset:5440
	ds_load_2addr_b64 v[36:39], v36 offset0:32 offset1:100
	v_mul_f32_e32 v44, v29, v7
	v_mul_f32_e32 v29, v29, v6
	v_fmac_f32_e32 v43, v34, v4
	v_fma_f32 v4, v34, v5, -v35
	v_fmac_f32_e32 v42, v32, v2
	v_fmac_f32_e32 v44, v28, v6
	v_fma_f32 v2, v32, v3, -v33
	s_wait_dscnt 0x3
	v_mul_f32_e32 v6, v31, v9
	v_fma_f32 v5, v28, v7, -v29
	v_mul_f32_e32 v7, v17, v11
	s_wait_dscnt 0x2
	v_dual_mul_f32 v17, v17, v10 :: v_dual_mul_f32 v28, v19, v21
	v_mul_f32_e32 v3, v31, v8
	s_delay_alu instid0(VALU_DEP_3) | instskip(NEXT) | instid1(VALU_DEP_3)
	v_dual_fmac_f32 v6, v30, v8 :: v_dual_fmac_f32 v7, v16, v10
	v_fma_f32 v10, v16, v11, -v17
	v_dual_mul_f32 v11, v19, v20 :: v_dual_mul_f32 v16, v13, v23
	s_delay_alu instid0(VALU_DEP_4) | instskip(SKIP_2) | instid1(VALU_DEP_4)
	v_fma_f32 v8, v30, v9, -v3
	v_dual_add_f32 v3, v0, v42 :: v_dual_fmac_f32 v28, v18, v20
	v_add_f32_e32 v9, v1, v2
	v_fma_f32 v11, v18, v21, -v11
	s_wait_dscnt 0x1
	v_dual_mul_f32 v18, v27, v41 :: v_dual_mul_f32 v13, v13, v22
	v_dual_add_f32 v3, v3, v43 :: v_dual_fmac_f32 v16, v12, v22
	s_wait_dscnt 0x0
	s_delay_alu instid0(VALU_DEP_2) | instskip(NEXT) | instid1(VALU_DEP_3)
	v_dual_mul_f32 v17, v25, v39 :: v_dual_fmac_f32 v18, v26, v40
	v_fma_f32 v12, v12, v23, -v13
	v_mul_f32_e32 v13, v15, v37
	v_mul_f32_e32 v15, v15, v36
	s_delay_alu instid0(VALU_DEP_4) | instskip(SKIP_1) | instid1(VALU_DEP_4)
	v_fmac_f32_e32 v17, v24, v38
	v_add_f32_e32 v21, v42, v18
	v_fmac_f32_e32 v13, v14, v36
	s_delay_alu instid0(VALU_DEP_4) | instskip(SKIP_1) | instid1(VALU_DEP_1)
	v_fma_f32 v14, v14, v37, -v15
	v_mul_f32_e32 v15, v27, v40
	v_fma_f32 v15, v26, v41, -v15
	v_add_f32_e32 v9, v9, v4
	s_delay_alu instid0(VALU_DEP_2) | instskip(SKIP_1) | instid1(VALU_DEP_3)
	v_dual_add_f32 v3, v3, v44 :: v_dual_add_f32 v22, v2, v15
	v_dual_sub_f32 v20, v2, v15 :: v_dual_mul_f32 v19, v25, v38
	v_add_f32_e32 v9, v9, v5
	s_delay_alu instid0(VALU_DEP_3) | instskip(NEXT) | instid1(VALU_DEP_3)
	v_mul_f32_e32 v27, 0x3ed4b147, v22
	v_mul_f32_e32 v29, 0xbf7d64f0, v20
	s_delay_alu instid0(VALU_DEP_4) | instskip(SKIP_2) | instid1(VALU_DEP_4)
	v_fma_f32 v19, v24, v39, -v19
	v_mul_f32_e32 v24, 0x3f575c64, v22
	v_add_f32_e32 v3, v3, v6
	v_dual_mul_f32 v31, 0xbe11bafb, v22 :: v_dual_fmamk_f32 v32, v21, 0xbe11bafb, v29
	v_mul_f32_e32 v35, 0xbf27a4f4, v22
	v_sub_f32_e32 v39, v4, v19
	s_delay_alu instid0(VALU_DEP_4) | instskip(NEXT) | instid1(VALU_DEP_4)
	v_dual_add_f32 v3, v3, v7 :: v_dual_mul_f32 v34, 0xbf4178ce, v20
	v_add_f32_e32 v32, v0, v32
	v_mul_f32_e32 v22, 0xbf75a155, v22
	s_delay_alu instid0(VALU_DEP_3) | instskip(NEXT) | instid1(VALU_DEP_1)
	v_dual_add_f32 v4, v4, v19 :: v_dual_add_f32 v3, v3, v28
	v_dual_fmamk_f32 v36, v21, 0xbf27a4f4, v34 :: v_dual_add_f32 v3, v3, v16
	s_delay_alu instid0(VALU_DEP_1) | instskip(NEXT) | instid1(VALU_DEP_1)
	v_dual_add_f32 v36, v0, v36 :: v_dual_add_f32 v3, v3, v13
	v_dual_add_f32 v9, v9, v8 :: v_dual_add_f32 v2, v3, v17
	s_delay_alu instid0(VALU_DEP_1) | instskip(NEXT) | instid1(VALU_DEP_1)
	v_add_f32_e32 v9, v9, v10
	v_dual_add_f32 v2, v2, v18 :: v_dual_add_f32 v9, v9, v11
	s_delay_alu instid0(VALU_DEP_1) | instskip(NEXT) | instid1(VALU_DEP_1)
	v_add_f32_e32 v9, v9, v12
	v_add_f32_e32 v9, v9, v14
	s_delay_alu instid0(VALU_DEP_1) | instskip(SKIP_1) | instid1(VALU_DEP_2)
	v_add_f32_e32 v3, v9, v19
	v_dual_sub_f32 v9, v42, v18 :: v_dual_mul_f32 v42, 0xbf75a155, v4
	v_add_f32_e32 v3, v3, v15
	v_mul_f32_e32 v15, 0xbf68dda4, v20
	s_delay_alu instid0(VALU_DEP_3)
	v_fmamk_f32 v40, v9, 0x3e903f40, v22
	v_fma_f32 v34, 0xbf27a4f4, v21, -v34
	v_mul_f32_e32 v23, 0xbf0a6770, v20
	v_mul_f32_e32 v20, 0xbe903f40, v20
	v_fmamk_f32 v26, v21, 0x3ed4b147, v15
	v_fma_f32 v15, 0x3ed4b147, v21, -v15
	s_delay_alu instid0(VALU_DEP_4) | instskip(NEXT) | instid1(VALU_DEP_4)
	v_dual_add_f32 v34, v0, v34 :: v_dual_fmamk_f32 v25, v21, 0x3f575c64, v23
	v_fmamk_f32 v38, v21, 0xbf75a155, v20
	v_fmamk_f32 v18, v9, 0x3f0a6770, v24
	v_fmac_f32_e32 v24, 0xbf0a6770, v9
	v_fma_f32 v23, 0x3f575c64, v21, -v23
	v_fma_f32 v29, 0xbe11bafb, v21, -v29
	;; [unrolled: 1-line block ×3, first 2 shown]
	s_delay_alu instid0(VALU_DEP_4) | instskip(SKIP_3) | instid1(VALU_DEP_3)
	v_dual_mul_f32 v21, 0xbf68dda4, v39 :: v_dual_add_f32 v24, v1, v24
	v_add_f32_e32 v19, v43, v17
	v_dual_add_f32 v25, v0, v25 :: v_dual_add_f32 v40, v1, v40
	v_add_f32_e32 v23, v0, v23
	v_dual_add_f32 v26, v0, v26 :: v_dual_fmamk_f32 v41, v19, 0x3ed4b147, v21
	v_add_f32_e32 v15, v0, v15
	v_dual_add_f32 v38, v0, v38 :: v_dual_fmamk_f32 v33, v9, 0x3f7d64f0, v31
	v_fmac_f32_e32 v31, 0xbf7d64f0, v9
	s_delay_alu instid0(VALU_DEP_4)
	v_add_f32_e32 v25, v41, v25
	v_mul_f32_e32 v41, 0xbf27a4f4, v4
	v_add_f32_e32 v29, v0, v29
	v_add_f32_e32 v0, v0, v20
	v_fmamk_f32 v30, v9, 0x3f68dda4, v27
	v_fmamk_f32 v37, v9, 0x3f4178ce, v35
	v_fmac_f32_e32 v35, 0xbf4178ce, v9
	v_fmac_f32_e32 v22, 0xbe903f40, v9
	v_fma_f32 v21, 0x3ed4b147, v19, -v21
	v_dual_add_f32 v30, v1, v30 :: v_dual_fmac_f32 v27, 0xbf68dda4, v9
	v_sub_f32_e32 v9, v43, v17
	v_dual_mul_f32 v17, 0x3ed4b147, v4 :: v_dual_add_f32 v18, v1, v18
	v_add_f32_e32 v33, v1, v33
	v_add_f32_e32 v31, v1, v31
	;; [unrolled: 1-line block ×3, first 2 shown]
	s_delay_alu instid0(VALU_DEP_4) | instskip(SKIP_3) | instid1(VALU_DEP_4)
	v_fmamk_f32 v20, v9, 0x3f68dda4, v17
	v_fmac_f32_e32 v17, 0xbf68dda4, v9
	v_add_f32_e32 v35, v1, v35
	v_add_f32_e32 v21, v21, v23
	v_dual_mul_f32 v23, 0x3e903f40, v39 :: v_dual_add_f32 v18, v20, v18
	s_delay_alu instid0(VALU_DEP_4)
	v_add_f32_e32 v17, v17, v24
	v_fmamk_f32 v24, v9, 0x3f4178ce, v41
	v_fmac_f32_e32 v41, 0xbf4178ce, v9
	ds_store_b64 v97, v[2:3]
	v_add_nc_u32_e32 v3, 0x400, v97
	v_add_nc_u32_e32 v2, 0x800, v97
	v_dual_add_f32 v24, v24, v30 :: v_dual_add_f32 v27, v1, v27
	v_dual_add_f32 v1, v1, v22 :: v_dual_mul_f32 v22, 0xbf4178ce, v39
	s_delay_alu instid0(VALU_DEP_1) | instskip(NEXT) | instid1(VALU_DEP_1)
	v_fmamk_f32 v20, v19, 0xbf27a4f4, v22
	v_add_f32_e32 v20, v20, v26
	v_fmamk_f32 v26, v19, 0xbf75a155, v23
	s_delay_alu instid0(VALU_DEP_1) | instskip(SKIP_4) | instid1(VALU_DEP_2)
	v_add_f32_e32 v26, v26, v32
	v_mul_f32_e32 v32, 0xbe11bafb, v4
	v_mul_f32_e32 v4, 0x3f575c64, v4
	v_fma_f32 v22, 0xbf27a4f4, v19, -v22
	v_fma_f32 v23, 0xbf75a155, v19, -v23
	v_add_f32_e32 v15, v22, v15
	v_add_f32_e32 v22, v41, v27
	v_fmamk_f32 v27, v9, 0xbe903f40, v42
	v_fmac_f32_e32 v42, 0x3e903f40, v9
	v_dual_mul_f32 v30, 0x3f7d64f0, v39 :: v_dual_add_f32 v23, v23, v29
	v_fmamk_f32 v29, v9, 0xbf7d64f0, v32
	v_mul_f32_e32 v39, 0x3f0a6770, v39
	v_fmac_f32_e32 v32, 0x3f7d64f0, v9
	s_delay_alu instid0(VALU_DEP_3)
	v_add_f32_e32 v29, v29, v37
	v_add_f32_e32 v37, v44, v13
	;; [unrolled: 1-line block ×3, first 2 shown]
	v_fmamk_f32 v33, v19, 0xbe11bafb, v30
	v_fma_f32 v30, 0xbe11bafb, v19, -v30
	v_add_f32_e32 v32, v32, v35
	s_delay_alu instid0(VALU_DEP_2)
	v_add_f32_e32 v30, v30, v34
	v_sub_f32_e32 v34, v5, v14
	v_add_f32_e32 v5, v5, v14
	v_dual_add_f32 v33, v33, v36 :: v_dual_fmamk_f32 v36, v19, 0x3f575c64, v39
	v_fma_f32 v14, 0x3f575c64, v19, -v39
	v_add_f32_e32 v31, v42, v31
	s_delay_alu instid0(VALU_DEP_4) | instskip(NEXT) | instid1(VALU_DEP_4)
	v_mul_f32_e32 v19, 0xbe11bafb, v5
	v_add_f32_e32 v35, v36, v38
	v_mul_f32_e32 v38, 0xbf7d64f0, v34
	v_fmamk_f32 v36, v9, 0xbf0a6770, v4
	v_fmac_f32_e32 v4, 0x3f0a6770, v9
	v_dual_sub_f32 v9, v44, v13 :: v_dual_add_f32 v0, v14, v0
	s_delay_alu instid0(VALU_DEP_4) | instskip(NEXT) | instid1(VALU_DEP_3)
	v_fmamk_f32 v13, v37, 0xbe11bafb, v38
	v_dual_mul_f32 v14, 0x3e903f40, v34 :: v_dual_add_f32 v1, v4, v1
	v_add_f32_e32 v36, v36, v40
	s_delay_alu instid0(VALU_DEP_3) | instskip(SKIP_3) | instid1(VALU_DEP_3)
	v_add_f32_e32 v4, v13, v25
	v_fmamk_f32 v13, v9, 0x3f7d64f0, v19
	v_fma_f32 v25, 0xbe11bafb, v37, -v38
	v_fmac_f32_e32 v19, 0xbf7d64f0, v9
	v_dual_mul_f32 v38, 0xbf75a155, v5 :: v_dual_add_f32 v13, v13, v18
	v_fmamk_f32 v18, v37, 0xbf75a155, v14
	s_delay_alu instid0(VALU_DEP_4) | instskip(SKIP_1) | instid1(VALU_DEP_3)
	v_add_f32_e32 v21, v25, v21
	v_fma_f32 v14, 0xbf75a155, v37, -v14
	v_dual_add_f32 v18, v18, v20 :: v_dual_add_f32 v17, v19, v17
	v_fmamk_f32 v19, v9, 0xbe903f40, v38
	v_fmac_f32_e32 v38, 0x3e903f40, v9
	s_delay_alu instid0(VALU_DEP_2) | instskip(SKIP_1) | instid1(VALU_DEP_3)
	v_dual_add_f32 v14, v14, v15 :: v_dual_add_f32 v19, v19, v24
	v_mul_f32_e32 v25, 0x3f68dda4, v34
	v_dual_mul_f32 v24, 0x3ed4b147, v5 :: v_dual_add_f32 v15, v38, v22
	v_mul_f32_e32 v22, 0xbf0a6770, v34
	s_delay_alu instid0(VALU_DEP_3) | instskip(NEXT) | instid1(VALU_DEP_1)
	v_fmamk_f32 v20, v37, 0x3ed4b147, v25
	v_add_f32_e32 v20, v20, v26
	s_delay_alu instid0(VALU_DEP_4) | instskip(SKIP_2) | instid1(VALU_DEP_3)
	v_fmamk_f32 v26, v9, 0xbf68dda4, v24
	v_fmac_f32_e32 v24, 0x3f68dda4, v9
	v_mul_f32_e32 v39, 0x3f575c64, v5
	v_dual_mul_f32 v5, 0xbf27a4f4, v5 :: v_dual_add_f32 v26, v26, v27
	s_delay_alu instid0(VALU_DEP_3)
	v_dual_add_f32 v24, v24, v31 :: v_dual_mul_f32 v31, 0xbf4178ce, v34
	v_add_f32_e32 v34, v6, v16
	v_fmamk_f32 v38, v37, 0x3f575c64, v22
	v_fma_f32 v22, 0x3f575c64, v37, -v22
	v_fma_f32 v25, 0x3ed4b147, v37, -v25
	v_sub_f32_e32 v6, v6, v16
	s_delay_alu instid0(VALU_DEP_3) | instskip(SKIP_1) | instid1(VALU_DEP_4)
	v_dual_add_f32 v22, v22, v30 :: v_dual_fmamk_f32 v27, v9, 0x3f0a6770, v39
	v_fmac_f32_e32 v39, 0xbf0a6770, v9
	v_add_f32_e32 v23, v25, v23
	v_add_f32_e32 v25, v38, v33
	v_fmamk_f32 v33, v9, 0x3f4178ce, v5
	s_delay_alu instid0(VALU_DEP_4) | instskip(SKIP_2) | instid1(VALU_DEP_2)
	v_dual_fmac_f32 v5, 0xbf4178ce, v9 :: v_dual_add_f32 v30, v39, v32
	v_sub_f32_e32 v32, v8, v12
	v_dual_add_f32 v8, v8, v12 :: v_dual_add_f32 v27, v27, v29
	v_dual_mul_f32 v12, 0xbf4178ce, v32 :: v_dual_add_f32 v1, v5, v1
	v_mul_f32_e32 v5, 0x3f7d64f0, v32
	s_delay_alu instid0(VALU_DEP_2) | instskip(SKIP_1) | instid1(VALU_DEP_2)
	v_dual_mul_f32 v9, 0xbf27a4f4, v8 :: v_dual_fmamk_f32 v16, v34, 0xbf27a4f4, v12
	v_fma_f32 v12, 0xbf27a4f4, v34, -v12
	v_add_f32_e32 v4, v16, v4
	s_delay_alu instid0(VALU_DEP_4) | instskip(NEXT) | instid1(VALU_DEP_3)
	v_fmamk_f32 v16, v34, 0xbe11bafb, v5
	v_add_f32_e32 v12, v12, v21
	v_fma_f32 v5, 0xbe11bafb, v34, -v5
	s_delay_alu instid0(VALU_DEP_3) | instskip(NEXT) | instid1(VALU_DEP_1)
	v_dual_mul_f32 v21, 0x3f575c64, v8 :: v_dual_add_f32 v16, v16, v18
	v_dual_add_f32 v14, v5, v14 :: v_dual_fmamk_f32 v5, v6, 0x3f0a6770, v21
	v_fmac_f32_e32 v21, 0xbf0a6770, v6
	s_delay_alu instid0(VALU_DEP_2) | instskip(NEXT) | instid1(VALU_DEP_1)
	v_dual_add_f32 v26, v5, v26 :: v_dual_mul_f32 v5, 0xbf75a155, v8
	v_dual_add_f32 v21, v21, v24 :: v_dual_fmamk_f32 v24, v6, 0x3e903f40, v5
	s_delay_alu instid0(VALU_DEP_1) | instskip(SKIP_2) | instid1(VALU_DEP_1)
	v_dual_fmac_f32 v5, 0xbe903f40, v6 :: v_dual_add_f32 v24, v24, v27
	v_fmamk_f32 v29, v37, 0xbf27a4f4, v31
	v_fma_f32 v31, 0xbf27a4f4, v37, -v31
	v_dual_add_f32 v0, v31, v0 :: v_dual_fmamk_f32 v31, v6, 0x3f4178ce, v9
	v_fmac_f32_e32 v9, 0xbf4178ce, v6
	s_delay_alu instid0(VALU_DEP_2) | instskip(SKIP_1) | instid1(VALU_DEP_3)
	v_add_f32_e32 v13, v31, v13
	v_mul_f32_e32 v31, 0xbe11bafb, v8
	v_add_f32_e32 v9, v9, v17
	v_mul_f32_e32 v17, 0xbf0a6770, v32
	v_dual_mul_f32 v8, 0x3ed4b147, v8 :: v_dual_add_f32 v29, v29, v35
	s_delay_alu instid0(VALU_DEP_4) | instskip(NEXT) | instid1(VALU_DEP_3)
	v_fmamk_f32 v18, v6, 0xbf7d64f0, v31
	v_fmamk_f32 v35, v34, 0x3f575c64, v17
	v_fma_f32 v17, 0x3f575c64, v34, -v17
	s_delay_alu instid0(VALU_DEP_2) | instskip(NEXT) | instid1(VALU_DEP_2)
	v_dual_add_f32 v18, v18, v19 :: v_dual_add_f32 v19, v35, v20
	v_dual_mul_f32 v20, 0xbe903f40, v32 :: v_dual_add_f32 v17, v17, v23
	v_fmac_f32_e32 v31, 0x3f7d64f0, v6
	v_mul_f32_e32 v23, 0x3f68dda4, v32
	s_delay_alu instid0(VALU_DEP_2) | instskip(NEXT) | instid1(VALU_DEP_4)
	v_add_f32_e32 v15, v31, v15
	v_fmamk_f32 v31, v34, 0xbf75a155, v20
	v_fma_f32 v20, 0xbf75a155, v34, -v20
	s_delay_alu instid0(VALU_DEP_2) | instskip(NEXT) | instid1(VALU_DEP_2)
	v_add_f32_e32 v25, v31, v25
	v_dual_fmamk_f32 v31, v34, 0x3ed4b147, v23 :: v_dual_add_f32 v20, v20, v22
	v_dual_add_f32 v22, v5, v30 :: v_dual_fmamk_f32 v5, v6, 0xbf68dda4, v8
	v_fma_f32 v23, 0x3ed4b147, v34, -v23
	v_add_f32_e32 v30, v10, v11
	s_delay_alu instid0(VALU_DEP_4) | instskip(SKIP_2) | instid1(VALU_DEP_4)
	v_dual_fmac_f32 v8, 0x3f68dda4, v6 :: v_dual_add_f32 v27, v31, v29
	v_add_f32_e32 v31, v7, v28
	v_dual_sub_f32 v29, v10, v11 :: v_dual_sub_f32 v28, v7, v28
	v_dual_mul_f32 v7, 0xbf75a155, v30 :: v_dual_add_f32 v0, v23, v0
	s_delay_alu instid0(VALU_DEP_2) | instskip(SKIP_1) | instid1(VALU_DEP_3)
	v_dual_add_f32 v33, v33, v36 :: v_dual_mul_f32 v10, 0xbe903f40, v29
	v_mul_f32_e32 v11, 0x3f0a6770, v29
	v_fmamk_f32 v6, v28, 0x3e903f40, v7
	v_add_f32_e32 v1, v8, v1
	s_delay_alu instid0(VALU_DEP_4) | instskip(SKIP_3) | instid1(VALU_DEP_4)
	v_dual_add_f32 v32, v5, v33 :: v_dual_fmamk_f32 v5, v31, 0xbf75a155, v10
	v_fma_f32 v8, 0xbf75a155, v31, -v10
	v_fmac_f32_e32 v7, 0xbe903f40, v28
	v_fmamk_f32 v10, v31, 0x3f575c64, v11
	v_dual_mul_f32 v23, 0xbf4178ce, v29 :: v_dual_add_f32 v4, v5, v4
	v_add_f32_e32 v5, v6, v13
	v_dual_mul_f32 v13, 0x3f575c64, v30 :: v_dual_add_f32 v6, v8, v12
	s_delay_alu instid0(VALU_DEP_4) | instskip(SKIP_1) | instid1(VALU_DEP_3)
	v_dual_add_f32 v7, v7, v9 :: v_dual_add_f32 v8, v10, v16
	v_mul_f32_e32 v16, 0xbf27a4f4, v30
	v_fmamk_f32 v9, v28, 0xbf0a6770, v13
	v_fmac_f32_e32 v13, 0x3f0a6770, v28
	v_fma_f32 v10, 0x3f575c64, v31, -v11
	s_delay_alu instid0(VALU_DEP_3) | instskip(NEXT) | instid1(VALU_DEP_3)
	v_dual_fmamk_f32 v12, v31, 0xbf27a4f4, v23 :: v_dual_add_f32 v9, v9, v18
	v_dual_mul_f32 v18, 0x3f68dda4, v29 :: v_dual_add_f32 v11, v13, v15
	v_fmamk_f32 v13, v28, 0x3f4178ce, v16
	v_fmac_f32_e32 v16, 0xbf4178ce, v28
	v_add_f32_e32 v10, v10, v14
	v_add_f32_e32 v12, v12, v19
	v_fma_f32 v14, 0xbf27a4f4, v31, -v23
	v_mul_f32_e32 v19, 0x3ed4b147, v30
	v_fmamk_f32 v23, v31, 0x3ed4b147, v18
	v_add_f32_e32 v15, v16, v21
	v_mul_f32_e32 v21, 0xbf7d64f0, v29
	s_delay_alu instid0(VALU_DEP_4) | instskip(NEXT) | instid1(VALU_DEP_4)
	v_dual_add_f32 v14, v14, v17 :: v_dual_fmamk_f32 v17, v28, 0xbf68dda4, v19
	v_dual_add_f32 v16, v23, v25 :: v_dual_fmac_f32 v19, 0x3f68dda4, v28
	s_delay_alu instid0(VALU_DEP_3) | instskip(SKIP_1) | instid1(VALU_DEP_4)
	v_fma_f32 v25, 0xbe11bafb, v31, -v21
	v_mul_f32_e32 v23, 0xbe11bafb, v30
	v_add_f32_e32 v17, v17, v24
	v_add_f32_e32 v13, v13, v26
	s_delay_alu instid0(VALU_DEP_4) | instskip(SKIP_4) | instid1(VALU_DEP_3)
	v_dual_add_f32 v19, v19, v22 :: v_dual_add_f32 v22, v25, v0
	v_add_nc_u32_e32 v0, 0x1000, v97
	v_fma_f32 v18, 0x3ed4b147, v31, -v18
	v_fmamk_f32 v24, v28, 0x3f7d64f0, v23
	v_fmac_f32_e32 v23, 0xbf7d64f0, v28
	v_add_f32_e32 v18, v18, v20
	v_fmamk_f32 v20, v31, 0xbe11bafb, v21
	s_delay_alu instid0(VALU_DEP_3) | instskip(SKIP_2) | instid1(VALU_DEP_4)
	v_add_f32_e32 v23, v23, v1
	v_add_nc_u32_e32 v1, 0xc00, v97
	v_add_f32_e32 v21, v24, v32
	v_add_f32_e32 v20, v20, v27
	ds_store_2addr_b64 v97, v[4:5], v[8:9] offset0:68 offset1:136
	ds_store_2addr_b64 v3, v[12:13], v[16:17] offset0:76 offset1:144
	;; [unrolled: 1-line block ×5, first 2 shown]
	global_wb scope:SCOPE_SE
	s_wait_dscnt 0x0
	s_barrier_signal -1
	s_barrier_wait -1
	global_inv scope:SCOPE_SE
	s_and_b32 exec_lo, exec_lo, vcc_lo
	s_cbranch_execz .LBB0_23
; %bb.22:
	global_load_b64 v[4:5], v92, s[12:13]
	ds_load_b64 v[6:7], v97
	v_mad_co_u64_u32 v[10:11], null, s4, v93, 0
	s_mov_b32 s0, 0xb8d015e7
	s_mov_b32 s1, 0x3f55e75b
	s_mul_u64 s[2:3], s[4:5], 0x160
	s_wait_loadcnt_dscnt 0x0
	v_mul_f32_e32 v8, v7, v5
	v_mul_f32_e32 v5, v6, v5
	s_delay_alu instid0(VALU_DEP_2) | instskip(NEXT) | instid1(VALU_DEP_2)
	v_fmac_f32_e32 v8, v6, v4
	v_fma_f32 v6, v4, v7, -v5
	s_delay_alu instid0(VALU_DEP_2) | instskip(NEXT) | instid1(VALU_DEP_2)
	v_cvt_f64_f32_e32 v[4:5], v8
	v_cvt_f64_f32_e32 v[6:7], v6
	v_mad_co_u64_u32 v[8:9], null, s6, v60, 0
	s_wait_alu 0xfffe
	s_delay_alu instid0(VALU_DEP_3) | instskip(NEXT) | instid1(VALU_DEP_3)
	v_mul_f64_e32 v[4:5], s[0:1], v[4:5]
	v_mul_f64_e32 v[6:7], s[0:1], v[6:7]
	s_delay_alu instid0(VALU_DEP_2) | instskip(NEXT) | instid1(VALU_DEP_2)
	v_cvt_f32_f64_e32 v4, v[4:5]
	v_cvt_f32_f64_e32 v5, v[6:7]
	v_dual_mov_b32 v7, v11 :: v_dual_mov_b32 v6, v9
	s_delay_alu instid0(VALU_DEP_1) | instskip(SKIP_1) | instid1(VALU_DEP_2)
	v_mad_co_u64_u32 v[11:12], null, s7, v60, v[6:7]
	v_mad_co_u64_u32 v[6:7], null, s5, v93, v[7:8]
	v_mov_b32_e32 v9, v11
	s_delay_alu instid0(VALU_DEP_2) | instskip(NEXT) | instid1(VALU_DEP_2)
	v_mov_b32_e32 v11, v6
	v_lshlrev_b64_e32 v[6:7], 3, v[8:9]
	s_delay_alu instid0(VALU_DEP_2) | instskip(NEXT) | instid1(VALU_DEP_2)
	v_lshlrev_b64_e32 v[8:9], 3, v[10:11]
	v_add_co_u32 v12, vcc_lo, s14, v6
	s_delay_alu instid0(VALU_DEP_3) | instskip(NEXT) | instid1(VALU_DEP_2)
	v_add_co_ci_u32_e32 v13, vcc_lo, s15, v7, vcc_lo
	v_add_co_u32 v8, vcc_lo, v12, v8
	s_wait_alu 0xfffd
	s_delay_alu instid0(VALU_DEP_2)
	v_add_co_ci_u32_e32 v9, vcc_lo, v13, v9, vcc_lo
	global_store_b64 v[8:9], v[4:5], off
	global_load_b64 v[10:11], v92, s[12:13] offset:352
	ds_load_2addr_b64 v[4:7], v97 offset0:44 offset1:88
	v_add_co_u32 v8, vcc_lo, v8, s2
	s_wait_alu 0xfffd
	v_add_co_ci_u32_e32 v9, vcc_lo, s3, v9, vcc_lo
	s_wait_loadcnt_dscnt 0x0
	v_mul_f32_e32 v14, v5, v11
	v_mul_f32_e32 v11, v4, v11
	s_delay_alu instid0(VALU_DEP_2) | instskip(NEXT) | instid1(VALU_DEP_2)
	v_fmac_f32_e32 v14, v4, v10
	v_fma_f32 v10, v10, v5, -v11
	s_delay_alu instid0(VALU_DEP_2) | instskip(NEXT) | instid1(VALU_DEP_2)
	v_cvt_f64_f32_e32 v[4:5], v14
	v_cvt_f64_f32_e32 v[10:11], v10
	s_delay_alu instid0(VALU_DEP_2) | instskip(NEXT) | instid1(VALU_DEP_2)
	v_mul_f64_e32 v[4:5], s[0:1], v[4:5]
	v_mul_f64_e32 v[10:11], s[0:1], v[10:11]
	s_delay_alu instid0(VALU_DEP_2) | instskip(NEXT) | instid1(VALU_DEP_2)
	v_cvt_f32_f64_e32 v4, v[4:5]
	v_cvt_f32_f64_e32 v5, v[10:11]
	global_store_b64 v[8:9], v[4:5], off
	global_load_b64 v[4:5], v92, s[12:13] offset:704
	v_add_co_u32 v8, vcc_lo, v8, s2
	s_wait_alu 0xfffd
	v_add_co_ci_u32_e32 v9, vcc_lo, s3, v9, vcc_lo
	s_wait_loadcnt 0x0
	v_mul_f32_e32 v10, v7, v5
	v_mul_f32_e32 v5, v6, v5
	s_delay_alu instid0(VALU_DEP_2) | instskip(NEXT) | instid1(VALU_DEP_2)
	v_fmac_f32_e32 v10, v6, v4
	v_fma_f32 v6, v4, v7, -v5
	s_delay_alu instid0(VALU_DEP_2) | instskip(NEXT) | instid1(VALU_DEP_2)
	v_cvt_f64_f32_e32 v[4:5], v10
	v_cvt_f64_f32_e32 v[6:7], v6
	s_delay_alu instid0(VALU_DEP_2) | instskip(NEXT) | instid1(VALU_DEP_2)
	v_mul_f64_e32 v[4:5], s[0:1], v[4:5]
	v_mul_f64_e32 v[6:7], s[0:1], v[6:7]
	s_delay_alu instid0(VALU_DEP_2) | instskip(NEXT) | instid1(VALU_DEP_2)
	v_cvt_f32_f64_e32 v4, v[4:5]
	v_cvt_f32_f64_e32 v5, v[6:7]
	global_store_b64 v[8:9], v[4:5], off
	global_load_b64 v[10:11], v92, s[12:13] offset:1056
	ds_load_2addr_b64 v[4:7], v97 offset0:132 offset1:176
	v_add_co_u32 v8, vcc_lo, v8, s2
	s_wait_alu 0xfffd
	v_add_co_ci_u32_e32 v9, vcc_lo, s3, v9, vcc_lo
	s_wait_loadcnt_dscnt 0x0
	v_mul_f32_e32 v14, v5, v11
	v_mul_f32_e32 v11, v4, v11
	s_delay_alu instid0(VALU_DEP_2) | instskip(NEXT) | instid1(VALU_DEP_2)
	v_fmac_f32_e32 v14, v4, v10
	v_fma_f32 v10, v10, v5, -v11
	s_delay_alu instid0(VALU_DEP_2) | instskip(NEXT) | instid1(VALU_DEP_2)
	v_cvt_f64_f32_e32 v[4:5], v14
	v_cvt_f64_f32_e32 v[10:11], v10
	s_delay_alu instid0(VALU_DEP_2) | instskip(NEXT) | instid1(VALU_DEP_2)
	v_mul_f64_e32 v[4:5], s[0:1], v[4:5]
	v_mul_f64_e32 v[10:11], s[0:1], v[10:11]
	s_delay_alu instid0(VALU_DEP_2) | instskip(NEXT) | instid1(VALU_DEP_2)
	v_cvt_f32_f64_e32 v4, v[4:5]
	v_cvt_f32_f64_e32 v5, v[10:11]
	global_store_b64 v[8:9], v[4:5], off
	global_load_b64 v[4:5], v92, s[12:13] offset:1408
	s_wait_loadcnt 0x0
	v_mul_f32_e32 v10, v7, v5
	v_mul_f32_e32 v5, v6, v5
	s_delay_alu instid0(VALU_DEP_2) | instskip(NEXT) | instid1(VALU_DEP_2)
	v_fmac_f32_e32 v10, v6, v4
	v_fma_f32 v6, v4, v7, -v5
	s_delay_alu instid0(VALU_DEP_2) | instskip(NEXT) | instid1(VALU_DEP_2)
	v_cvt_f64_f32_e32 v[4:5], v10
	v_cvt_f64_f32_e32 v[6:7], v6
	s_delay_alu instid0(VALU_DEP_2) | instskip(NEXT) | instid1(VALU_DEP_2)
	v_mul_f64_e32 v[4:5], s[0:1], v[4:5]
	v_mul_f64_e32 v[6:7], s[0:1], v[6:7]
	s_delay_alu instid0(VALU_DEP_2) | instskip(NEXT) | instid1(VALU_DEP_2)
	v_cvt_f32_f64_e32 v4, v[4:5]
	v_cvt_f32_f64_e32 v5, v[6:7]
	v_add_co_u32 v7, vcc_lo, v8, s2
	s_wait_alu 0xfffd
	v_add_co_ci_u32_e32 v8, vcc_lo, s3, v9, vcc_lo
	global_store_b64 v[7:8], v[4:5], off
	global_load_b64 v[9:10], v92, s[12:13] offset:1760
	ds_load_2addr_b64 v[3:6], v3 offset0:92 offset1:136
	v_add_co_u32 v7, vcc_lo, v7, s2
	s_wait_alu 0xfffd
	v_add_co_ci_u32_e32 v8, vcc_lo, s3, v8, vcc_lo
	s_wait_loadcnt_dscnt 0x0
	v_mul_f32_e32 v11, v4, v10
	v_mul_f32_e32 v10, v3, v10
	s_delay_alu instid0(VALU_DEP_2) | instskip(NEXT) | instid1(VALU_DEP_2)
	v_fmac_f32_e32 v11, v3, v9
	v_fma_f32 v9, v9, v4, -v10
	s_delay_alu instid0(VALU_DEP_2) | instskip(NEXT) | instid1(VALU_DEP_2)
	v_cvt_f64_f32_e32 v[3:4], v11
	v_cvt_f64_f32_e32 v[9:10], v9
	s_delay_alu instid0(VALU_DEP_2) | instskip(NEXT) | instid1(VALU_DEP_2)
	v_mul_f64_e32 v[3:4], s[0:1], v[3:4]
	v_mul_f64_e32 v[9:10], s[0:1], v[9:10]
	s_delay_alu instid0(VALU_DEP_2) | instskip(NEXT) | instid1(VALU_DEP_2)
	v_cvt_f32_f64_e32 v3, v[3:4]
	v_cvt_f32_f64_e32 v4, v[9:10]
	global_store_b64 v[7:8], v[3:4], off
	global_load_b64 v[3:4], v92, s[12:13] offset:2112
	v_add_co_u32 v7, vcc_lo, v7, s2
	s_wait_alu 0xfffd
	v_add_co_ci_u32_e32 v8, vcc_lo, s3, v8, vcc_lo
	s_wait_loadcnt 0x0
	v_mul_f32_e32 v9, v6, v4
	v_mul_f32_e32 v4, v5, v4
	s_delay_alu instid0(VALU_DEP_2) | instskip(NEXT) | instid1(VALU_DEP_2)
	v_fmac_f32_e32 v9, v5, v3
	v_fma_f32 v5, v3, v6, -v4
	s_delay_alu instid0(VALU_DEP_2) | instskip(NEXT) | instid1(VALU_DEP_2)
	v_cvt_f64_f32_e32 v[3:4], v9
	v_cvt_f64_f32_e32 v[5:6], v5
	s_delay_alu instid0(VALU_DEP_2) | instskip(NEXT) | instid1(VALU_DEP_2)
	v_mul_f64_e32 v[3:4], s[0:1], v[3:4]
	v_mul_f64_e32 v[5:6], s[0:1], v[5:6]
	s_delay_alu instid0(VALU_DEP_2) | instskip(NEXT) | instid1(VALU_DEP_2)
	v_cvt_f32_f64_e32 v3, v[3:4]
	v_cvt_f32_f64_e32 v4, v[5:6]
	global_store_b64 v[7:8], v[3:4], off
	global_load_b64 v[9:10], v92, s[12:13] offset:2464
	ds_load_2addr_b64 v[3:6], v2 offset0:52 offset1:96
	v_add_co_u32 v7, vcc_lo, v7, s2
	s_wait_alu 0xfffd
	v_add_co_ci_u32_e32 v8, vcc_lo, s3, v8, vcc_lo
	s_wait_loadcnt_dscnt 0x0
	v_mul_f32_e32 v11, v4, v10
	v_mul_f32_e32 v10, v3, v10
	s_delay_alu instid0(VALU_DEP_2) | instskip(NEXT) | instid1(VALU_DEP_2)
	v_fmac_f32_e32 v11, v3, v9
	v_fma_f32 v9, v9, v4, -v10
	s_delay_alu instid0(VALU_DEP_2) | instskip(NEXT) | instid1(VALU_DEP_2)
	v_cvt_f64_f32_e32 v[3:4], v11
	v_cvt_f64_f32_e32 v[9:10], v9
	s_delay_alu instid0(VALU_DEP_2) | instskip(NEXT) | instid1(VALU_DEP_2)
	v_mul_f64_e32 v[3:4], s[0:1], v[3:4]
	v_mul_f64_e32 v[9:10], s[0:1], v[9:10]
	s_delay_alu instid0(VALU_DEP_2) | instskip(NEXT) | instid1(VALU_DEP_2)
	v_cvt_f32_f64_e32 v3, v[3:4]
	v_cvt_f32_f64_e32 v4, v[9:10]
	global_store_b64 v[7:8], v[3:4], off
	global_load_b64 v[3:4], v92, s[12:13] offset:2816
	s_wait_loadcnt 0x0
	v_mul_f32_e32 v9, v6, v4
	v_mul_f32_e32 v4, v5, v4
	s_delay_alu instid0(VALU_DEP_2) | instskip(NEXT) | instid1(VALU_DEP_2)
	v_fmac_f32_e32 v9, v5, v3
	v_fma_f32 v5, v3, v6, -v4
	s_delay_alu instid0(VALU_DEP_2) | instskip(NEXT) | instid1(VALU_DEP_2)
	v_cvt_f64_f32_e32 v[3:4], v9
	v_cvt_f64_f32_e32 v[5:6], v5
	s_delay_alu instid0(VALU_DEP_2) | instskip(NEXT) | instid1(VALU_DEP_2)
	v_mul_f64_e32 v[3:4], s[0:1], v[3:4]
	v_mul_f64_e32 v[5:6], s[0:1], v[5:6]
	s_delay_alu instid0(VALU_DEP_2) | instskip(NEXT) | instid1(VALU_DEP_2)
	v_cvt_f32_f64_e32 v3, v[3:4]
	v_cvt_f32_f64_e32 v4, v[5:6]
	v_add_co_u32 v6, vcc_lo, v7, s2
	s_wait_alu 0xfffd
	v_add_co_ci_u32_e32 v7, vcc_lo, s3, v8, vcc_lo
	global_store_b64 v[6:7], v[3:4], off
	global_load_b64 v[8:9], v92, s[12:13] offset:3168
	ds_load_2addr_b64 v[2:5], v2 offset0:140 offset1:184
	v_add_co_u32 v6, vcc_lo, v6, s2
	s_wait_alu 0xfffd
	v_add_co_ci_u32_e32 v7, vcc_lo, s3, v7, vcc_lo
	s_wait_loadcnt_dscnt 0x0
	v_mul_f32_e32 v10, v3, v9
	v_mul_f32_e32 v9, v2, v9
	s_delay_alu instid0(VALU_DEP_2) | instskip(NEXT) | instid1(VALU_DEP_2)
	v_fmac_f32_e32 v10, v2, v8
	v_fma_f32 v8, v8, v3, -v9
	s_delay_alu instid0(VALU_DEP_2) | instskip(NEXT) | instid1(VALU_DEP_2)
	v_cvt_f64_f32_e32 v[2:3], v10
	v_cvt_f64_f32_e32 v[8:9], v8
	s_delay_alu instid0(VALU_DEP_2) | instskip(NEXT) | instid1(VALU_DEP_2)
	v_mul_f64_e32 v[2:3], s[0:1], v[2:3]
	v_mul_f64_e32 v[8:9], s[0:1], v[8:9]
	s_delay_alu instid0(VALU_DEP_2) | instskip(NEXT) | instid1(VALU_DEP_2)
	v_cvt_f32_f64_e32 v2, v[2:3]
	v_cvt_f32_f64_e32 v3, v[8:9]
	global_store_b64 v[6:7], v[2:3], off
	global_load_b64 v[2:3], v92, s[12:13] offset:3520
	s_wait_loadcnt 0x0
	v_mul_f32_e32 v8, v5, v3
	v_mul_f32_e32 v3, v4, v3
	s_delay_alu instid0(VALU_DEP_2) | instskip(NEXT) | instid1(VALU_DEP_2)
	v_fmac_f32_e32 v8, v4, v2
	v_fma_f32 v4, v2, v5, -v3
	s_delay_alu instid0(VALU_DEP_2) | instskip(NEXT) | instid1(VALU_DEP_2)
	v_cvt_f64_f32_e32 v[2:3], v8
	v_cvt_f64_f32_e32 v[4:5], v4
	s_delay_alu instid0(VALU_DEP_2) | instskip(NEXT) | instid1(VALU_DEP_2)
	v_mul_f64_e32 v[2:3], s[0:1], v[2:3]
	v_mul_f64_e32 v[4:5], s[0:1], v[4:5]
	s_delay_alu instid0(VALU_DEP_2) | instskip(NEXT) | instid1(VALU_DEP_2)
	v_cvt_f32_f64_e32 v2, v[2:3]
	v_cvt_f32_f64_e32 v3, v[4:5]
	v_add_co_u32 v5, vcc_lo, v6, s2
	s_wait_alu 0xfffd
	v_add_co_ci_u32_e32 v6, vcc_lo, s3, v7, vcc_lo
	global_store_b64 v[5:6], v[2:3], off
	global_load_b64 v[7:8], v92, s[12:13] offset:3872
	ds_load_2addr_b64 v[1:4], v1 offset0:100 offset1:144
	v_add_co_u32 v5, vcc_lo, v5, s2
	s_wait_alu 0xfffd
	v_add_co_ci_u32_e32 v6, vcc_lo, s3, v6, vcc_lo
	s_wait_loadcnt_dscnt 0x0
	v_mul_f32_e32 v9, v2, v8
	v_mul_f32_e32 v8, v1, v8
	s_delay_alu instid0(VALU_DEP_2) | instskip(NEXT) | instid1(VALU_DEP_2)
	v_fmac_f32_e32 v9, v1, v7
	v_fma_f32 v7, v7, v2, -v8
	s_delay_alu instid0(VALU_DEP_2) | instskip(NEXT) | instid1(VALU_DEP_2)
	v_cvt_f64_f32_e32 v[1:2], v9
	v_cvt_f64_f32_e32 v[7:8], v7
	s_delay_alu instid0(VALU_DEP_2) | instskip(NEXT) | instid1(VALU_DEP_2)
	v_mul_f64_e32 v[1:2], s[0:1], v[1:2]
	v_mul_f64_e32 v[7:8], s[0:1], v[7:8]
	s_delay_alu instid0(VALU_DEP_2) | instskip(NEXT) | instid1(VALU_DEP_2)
	v_cvt_f32_f64_e32 v1, v[1:2]
	v_cvt_f32_f64_e32 v2, v[7:8]
	global_store_b64 v[5:6], v[1:2], off
	global_load_b64 v[1:2], v92, s[12:13] offset:4224
	v_add_co_u32 v5, vcc_lo, v5, s2
	s_wait_alu 0xfffd
	v_add_co_ci_u32_e32 v6, vcc_lo, s3, v6, vcc_lo
	s_wait_loadcnt 0x0
	v_mul_f32_e32 v7, v4, v2
	v_mul_f32_e32 v2, v3, v2
	s_delay_alu instid0(VALU_DEP_2) | instskip(NEXT) | instid1(VALU_DEP_2)
	v_fmac_f32_e32 v7, v3, v1
	v_fma_f32 v3, v1, v4, -v2
	s_delay_alu instid0(VALU_DEP_2) | instskip(NEXT) | instid1(VALU_DEP_2)
	v_cvt_f64_f32_e32 v[1:2], v7
	v_cvt_f64_f32_e32 v[3:4], v3
	s_delay_alu instid0(VALU_DEP_2) | instskip(NEXT) | instid1(VALU_DEP_2)
	v_mul_f64_e32 v[1:2], s[0:1], v[1:2]
	v_mul_f64_e32 v[3:4], s[0:1], v[3:4]
	s_delay_alu instid0(VALU_DEP_2) | instskip(NEXT) | instid1(VALU_DEP_2)
	v_cvt_f32_f64_e32 v1, v[1:2]
	v_cvt_f32_f64_e32 v2, v[3:4]
	global_store_b64 v[5:6], v[1:2], off
	global_load_b64 v[7:8], v92, s[12:13] offset:4576
	ds_load_2addr_b64 v[1:4], v0 offset0:60 offset1:104
	v_add_co_u32 v5, vcc_lo, v5, s2
	s_wait_alu 0xfffd
	v_add_co_ci_u32_e32 v6, vcc_lo, s3, v6, vcc_lo
	s_wait_loadcnt_dscnt 0x0
	v_mul_f32_e32 v9, v2, v8
	v_mul_f32_e32 v8, v1, v8
	s_delay_alu instid0(VALU_DEP_2) | instskip(NEXT) | instid1(VALU_DEP_2)
	v_fmac_f32_e32 v9, v1, v7
	v_fma_f32 v7, v7, v2, -v8
	s_delay_alu instid0(VALU_DEP_2) | instskip(NEXT) | instid1(VALU_DEP_2)
	v_cvt_f64_f32_e32 v[1:2], v9
	v_cvt_f64_f32_e32 v[7:8], v7
	s_delay_alu instid0(VALU_DEP_2) | instskip(NEXT) | instid1(VALU_DEP_2)
	v_mul_f64_e32 v[1:2], s[0:1], v[1:2]
	v_mul_f64_e32 v[7:8], s[0:1], v[7:8]
	s_delay_alu instid0(VALU_DEP_2) | instskip(NEXT) | instid1(VALU_DEP_2)
	v_cvt_f32_f64_e32 v1, v[1:2]
	v_cvt_f32_f64_e32 v2, v[7:8]
	global_store_b64 v[5:6], v[1:2], off
	global_load_b64 v[1:2], v92, s[12:13] offset:4928
	s_wait_loadcnt 0x0
	v_mul_f32_e32 v7, v4, v2
	v_mul_f32_e32 v2, v3, v2
	s_delay_alu instid0(VALU_DEP_2) | instskip(NEXT) | instid1(VALU_DEP_2)
	v_fmac_f32_e32 v7, v3, v1
	v_fma_f32 v3, v1, v4, -v2
	s_delay_alu instid0(VALU_DEP_2) | instskip(NEXT) | instid1(VALU_DEP_2)
	v_cvt_f64_f32_e32 v[1:2], v7
	v_cvt_f64_f32_e32 v[3:4], v3
	s_delay_alu instid0(VALU_DEP_2) | instskip(NEXT) | instid1(VALU_DEP_2)
	v_mul_f64_e32 v[1:2], s[0:1], v[1:2]
	v_mul_f64_e32 v[3:4], s[0:1], v[3:4]
	s_delay_alu instid0(VALU_DEP_2) | instskip(NEXT) | instid1(VALU_DEP_2)
	v_cvt_f32_f64_e32 v1, v[1:2]
	v_cvt_f32_f64_e32 v2, v[3:4]
	v_add_co_u32 v4, vcc_lo, v5, s2
	s_wait_alu 0xfffd
	v_add_co_ci_u32_e32 v5, vcc_lo, s3, v6, vcc_lo
	global_store_b64 v[4:5], v[1:2], off
	global_load_b64 v[6:7], v92, s[12:13] offset:5280
	ds_load_2addr_b64 v[0:3], v0 offset0:148 offset1:192
	v_add_co_u32 v4, vcc_lo, v4, s2
	s_wait_alu 0xfffd
	v_add_co_ci_u32_e32 v5, vcc_lo, s3, v5, vcc_lo
	s_wait_loadcnt_dscnt 0x0
	v_mul_f32_e32 v8, v1, v7
	v_mul_f32_e32 v7, v0, v7
	s_delay_alu instid0(VALU_DEP_2) | instskip(NEXT) | instid1(VALU_DEP_2)
	v_fmac_f32_e32 v8, v0, v6
	v_fma_f32 v6, v6, v1, -v7
	s_delay_alu instid0(VALU_DEP_2) | instskip(NEXT) | instid1(VALU_DEP_2)
	v_cvt_f64_f32_e32 v[0:1], v8
	v_cvt_f64_f32_e32 v[6:7], v6
	s_delay_alu instid0(VALU_DEP_2) | instskip(NEXT) | instid1(VALU_DEP_2)
	v_mul_f64_e32 v[0:1], s[0:1], v[0:1]
	v_mul_f64_e32 v[6:7], s[0:1], v[6:7]
	s_delay_alu instid0(VALU_DEP_2) | instskip(NEXT) | instid1(VALU_DEP_2)
	v_cvt_f32_f64_e32 v0, v[0:1]
	v_cvt_f32_f64_e32 v1, v[6:7]
	global_store_b64 v[4:5], v[0:1], off
	global_load_b64 v[0:1], v92, s[12:13] offset:5632
	s_wait_loadcnt 0x0
	v_mul_f32_e32 v4, v3, v1
	v_mul_f32_e32 v1, v2, v1
	s_delay_alu instid0(VALU_DEP_2) | instskip(NEXT) | instid1(VALU_DEP_2)
	v_fmac_f32_e32 v4, v2, v0
	v_fma_f32 v2, v0, v3, -v1
	s_delay_alu instid0(VALU_DEP_2) | instskip(NEXT) | instid1(VALU_DEP_2)
	v_cvt_f64_f32_e32 v[0:1], v4
	v_cvt_f64_f32_e32 v[2:3], v2
	v_mad_co_u64_u32 v[4:5], null, s4, v91, 0
	s_delay_alu instid0(VALU_DEP_3) | instskip(NEXT) | instid1(VALU_DEP_3)
	v_mul_f64_e32 v[0:1], s[0:1], v[0:1]
	v_mul_f64_e32 v[2:3], s[0:1], v[2:3]
	s_delay_alu instid0(VALU_DEP_2) | instskip(NEXT) | instid1(VALU_DEP_2)
	v_cvt_f32_f64_e32 v0, v[0:1]
	v_cvt_f32_f64_e32 v1, v[2:3]
	v_mov_b32_e32 v2, v5
	s_delay_alu instid0(VALU_DEP_1) | instskip(NEXT) | instid1(VALU_DEP_1)
	v_mad_co_u64_u32 v[2:3], null, s5, v91, v[2:3]
	v_mov_b32_e32 v5, v2
	s_delay_alu instid0(VALU_DEP_1) | instskip(NEXT) | instid1(VALU_DEP_1)
	v_lshlrev_b64_e32 v[2:3], 3, v[4:5]
	v_add_co_u32 v2, vcc_lo, v12, v2
	s_wait_alu 0xfffd
	s_delay_alu instid0(VALU_DEP_2)
	v_add_co_ci_u32_e32 v3, vcc_lo, v13, v3, vcc_lo
	global_store_b64 v[2:3], v[0:1], off
.LBB0_23:
	s_nop 0
	s_sendmsg sendmsg(MSG_DEALLOC_VGPRS)
	s_endpgm
	.section	.rodata,"a",@progbits
	.p2align	6, 0x0
	.amdhsa_kernel bluestein_single_back_len748_dim1_sp_op_CI_CI
		.amdhsa_group_segment_fixed_size 17952
		.amdhsa_private_segment_fixed_size 0
		.amdhsa_kernarg_size 104
		.amdhsa_user_sgpr_count 2
		.amdhsa_user_sgpr_dispatch_ptr 0
		.amdhsa_user_sgpr_queue_ptr 0
		.amdhsa_user_sgpr_kernarg_segment_ptr 1
		.amdhsa_user_sgpr_dispatch_id 0
		.amdhsa_user_sgpr_private_segment_size 0
		.amdhsa_wavefront_size32 1
		.amdhsa_uses_dynamic_stack 0
		.amdhsa_enable_private_segment 0
		.amdhsa_system_sgpr_workgroup_id_x 1
		.amdhsa_system_sgpr_workgroup_id_y 0
		.amdhsa_system_sgpr_workgroup_id_z 0
		.amdhsa_system_sgpr_workgroup_info 0
		.amdhsa_system_vgpr_workitem_id 0
		.amdhsa_next_free_vgpr 216
		.amdhsa_next_free_sgpr 16
		.amdhsa_reserve_vcc 1
		.amdhsa_float_round_mode_32 0
		.amdhsa_float_round_mode_16_64 0
		.amdhsa_float_denorm_mode_32 3
		.amdhsa_float_denorm_mode_16_64 3
		.amdhsa_fp16_overflow 0
		.amdhsa_workgroup_processor_mode 1
		.amdhsa_memory_ordered 1
		.amdhsa_forward_progress 0
		.amdhsa_round_robin_scheduling 0
		.amdhsa_exception_fp_ieee_invalid_op 0
		.amdhsa_exception_fp_denorm_src 0
		.amdhsa_exception_fp_ieee_div_zero 0
		.amdhsa_exception_fp_ieee_overflow 0
		.amdhsa_exception_fp_ieee_underflow 0
		.amdhsa_exception_fp_ieee_inexact 0
		.amdhsa_exception_int_div_zero 0
	.end_amdhsa_kernel
	.text
.Lfunc_end0:
	.size	bluestein_single_back_len748_dim1_sp_op_CI_CI, .Lfunc_end0-bluestein_single_back_len748_dim1_sp_op_CI_CI
                                        ; -- End function
	.section	.AMDGPU.csdata,"",@progbits
; Kernel info:
; codeLenInByte = 22556
; NumSgprs: 18
; NumVgprs: 216
; ScratchSize: 0
; MemoryBound: 0
; FloatMode: 240
; IeeeMode: 1
; LDSByteSize: 17952 bytes/workgroup (compile time only)
; SGPRBlocks: 2
; VGPRBlocks: 26
; NumSGPRsForWavesPerEU: 18
; NumVGPRsForWavesPerEU: 216
; Occupancy: 7
; WaveLimiterHint : 1
; COMPUTE_PGM_RSRC2:SCRATCH_EN: 0
; COMPUTE_PGM_RSRC2:USER_SGPR: 2
; COMPUTE_PGM_RSRC2:TRAP_HANDLER: 0
; COMPUTE_PGM_RSRC2:TGID_X_EN: 1
; COMPUTE_PGM_RSRC2:TGID_Y_EN: 0
; COMPUTE_PGM_RSRC2:TGID_Z_EN: 0
; COMPUTE_PGM_RSRC2:TIDIG_COMP_CNT: 0
	.text
	.p2alignl 7, 3214868480
	.fill 96, 4, 3214868480
	.type	__hip_cuid_cdd2294658597564,@object ; @__hip_cuid_cdd2294658597564
	.section	.bss,"aw",@nobits
	.globl	__hip_cuid_cdd2294658597564
__hip_cuid_cdd2294658597564:
	.byte	0                               ; 0x0
	.size	__hip_cuid_cdd2294658597564, 1

	.ident	"AMD clang version 19.0.0git (https://github.com/RadeonOpenCompute/llvm-project roc-6.4.0 25133 c7fe45cf4b819c5991fe208aaa96edf142730f1d)"
	.section	".note.GNU-stack","",@progbits
	.addrsig
	.addrsig_sym __hip_cuid_cdd2294658597564
	.amdgpu_metadata
---
amdhsa.kernels:
  - .args:
      - .actual_access:  read_only
        .address_space:  global
        .offset:         0
        .size:           8
        .value_kind:     global_buffer
      - .actual_access:  read_only
        .address_space:  global
        .offset:         8
        .size:           8
        .value_kind:     global_buffer
      - .actual_access:  read_only
        .address_space:  global
        .offset:         16
        .size:           8
        .value_kind:     global_buffer
      - .actual_access:  read_only
        .address_space:  global
        .offset:         24
        .size:           8
        .value_kind:     global_buffer
      - .actual_access:  read_only
        .address_space:  global
        .offset:         32
        .size:           8
        .value_kind:     global_buffer
      - .offset:         40
        .size:           8
        .value_kind:     by_value
      - .address_space:  global
        .offset:         48
        .size:           8
        .value_kind:     global_buffer
      - .address_space:  global
        .offset:         56
        .size:           8
        .value_kind:     global_buffer
      - .address_space:  global
        .offset:         64
        .size:           8
        .value_kind:     global_buffer
      - .address_space:  global
        .offset:         72
        .size:           8
        .value_kind:     global_buffer
      - .offset:         80
        .size:           4
        .value_kind:     by_value
      - .address_space:  global
        .offset:         88
        .size:           8
        .value_kind:     global_buffer
      - .address_space:  global
        .offset:         96
        .size:           8
        .value_kind:     global_buffer
    .group_segment_fixed_size: 17952
    .kernarg_segment_align: 8
    .kernarg_segment_size: 104
    .language:       OpenCL C
    .language_version:
      - 2
      - 0
    .max_flat_workgroup_size: 204
    .name:           bluestein_single_back_len748_dim1_sp_op_CI_CI
    .private_segment_fixed_size: 0
    .sgpr_count:     18
    .sgpr_spill_count: 0
    .symbol:         bluestein_single_back_len748_dim1_sp_op_CI_CI.kd
    .uniform_work_group_size: 1
    .uses_dynamic_stack: false
    .vgpr_count:     216
    .vgpr_spill_count: 0
    .wavefront_size: 32
    .workgroup_processor_mode: 1
amdhsa.target:   amdgcn-amd-amdhsa--gfx1201
amdhsa.version:
  - 1
  - 2
...

	.end_amdgpu_metadata
